;; amdgpu-corpus repo=ROCm/rocFFT kind=compiled arch=gfx1030 opt=O3
	.text
	.amdgcn_target "amdgcn-amd-amdhsa--gfx1030"
	.amdhsa_code_object_version 6
	.protected	fft_rtc_fwd_len3125_factors_5_5_5_5_5_wgs_125_tpt_125_halfLds_sp_op_CI_CI_sbrr_dirReg ; -- Begin function fft_rtc_fwd_len3125_factors_5_5_5_5_5_wgs_125_tpt_125_halfLds_sp_op_CI_CI_sbrr_dirReg
	.globl	fft_rtc_fwd_len3125_factors_5_5_5_5_5_wgs_125_tpt_125_halfLds_sp_op_CI_CI_sbrr_dirReg
	.p2align	8
	.type	fft_rtc_fwd_len3125_factors_5_5_5_5_5_wgs_125_tpt_125_halfLds_sp_op_CI_CI_sbrr_dirReg,@function
fft_rtc_fwd_len3125_factors_5_5_5_5_5_wgs_125_tpt_125_halfLds_sp_op_CI_CI_sbrr_dirReg: ; @fft_rtc_fwd_len3125_factors_5_5_5_5_5_wgs_125_tpt_125_halfLds_sp_op_CI_CI_sbrr_dirReg
; %bb.0:
	s_clause 0x2
	s_load_dwordx4 s[16:19], s[4:5], 0x18
	s_load_dwordx4 s[12:15], s[4:5], 0x0
	;; [unrolled: 1-line block ×3, first 2 shown]
	v_mul_u32_u24_e32 v2, 0x20d, v0
	v_mov_b32_e32 v1, 0
	v_mov_b32_e32 v24, 0
	;; [unrolled: 1-line block ×3, first 2 shown]
	s_waitcnt lgkmcnt(0)
	s_load_dwordx2 s[20:21], s[16:17], 0x0
	s_load_dwordx2 s[2:3], s[18:19], 0x0
	v_cmp_lt_u64_e64 s0, s[14:15], 2
	v_add_nc_u32_sdwa v8, s6, v2 dst_sel:DWORD dst_unused:UNUSED_PAD src0_sel:DWORD src1_sel:WORD_1
	v_mov_b32_e32 v9, v1
	s_and_b32 vcc_lo, exec_lo, s0
	s_cbranch_vccnz .LBB0_8
; %bb.1:
	s_load_dwordx2 s[0:1], s[4:5], 0x10
	v_mov_b32_e32 v24, 0
	v_mov_b32_e32 v25, 0
	s_add_u32 s6, s18, 8
	s_addc_u32 s7, s19, 0
	v_mov_b32_e32 v4, v24
	s_add_u32 s22, s16, 8
	v_mov_b32_e32 v5, v25
	s_addc_u32 s23, s17, 0
	s_mov_b64 s[26:27], 1
	s_waitcnt lgkmcnt(0)
	s_add_u32 s24, s0, 8
	s_addc_u32 s25, s1, 0
.LBB0_2:                                ; =>This Inner Loop Header: Depth=1
	s_load_dwordx2 s[28:29], s[24:25], 0x0
                                        ; implicit-def: $vgpr6_vgpr7
	s_mov_b32 s0, exec_lo
	s_waitcnt lgkmcnt(0)
	v_or_b32_e32 v2, s29, v9
	v_cmpx_ne_u64_e32 0, v[1:2]
	s_xor_b32 s1, exec_lo, s0
	s_cbranch_execz .LBB0_4
; %bb.3:                                ;   in Loop: Header=BB0_2 Depth=1
	v_cvt_f32_u32_e32 v2, s28
	v_cvt_f32_u32_e32 v3, s29
	s_sub_u32 s0, 0, s28
	s_subb_u32 s30, 0, s29
	v_fmac_f32_e32 v2, 0x4f800000, v3
	v_rcp_f32_e32 v2, v2
	v_mul_f32_e32 v2, 0x5f7ffffc, v2
	v_mul_f32_e32 v3, 0x2f800000, v2
	v_trunc_f32_e32 v3, v3
	v_fmac_f32_e32 v2, 0xcf800000, v3
	v_cvt_u32_f32_e32 v3, v3
	v_cvt_u32_f32_e32 v2, v2
	v_mul_lo_u32 v6, s0, v3
	v_mul_hi_u32 v7, s0, v2
	v_mul_lo_u32 v10, s30, v2
	v_add_nc_u32_e32 v6, v7, v6
	v_mul_lo_u32 v7, s0, v2
	v_add_nc_u32_e32 v6, v6, v10
	v_mul_hi_u32 v10, v2, v7
	v_mul_lo_u32 v11, v2, v6
	v_mul_hi_u32 v12, v2, v6
	v_mul_hi_u32 v13, v3, v7
	v_mul_lo_u32 v7, v3, v7
	v_mul_hi_u32 v14, v3, v6
	v_mul_lo_u32 v6, v3, v6
	v_add_co_u32 v10, vcc_lo, v10, v11
	v_add_co_ci_u32_e32 v11, vcc_lo, 0, v12, vcc_lo
	v_add_co_u32 v7, vcc_lo, v10, v7
	v_add_co_ci_u32_e32 v7, vcc_lo, v11, v13, vcc_lo
	v_add_co_ci_u32_e32 v10, vcc_lo, 0, v14, vcc_lo
	v_add_co_u32 v6, vcc_lo, v7, v6
	v_add_co_ci_u32_e32 v7, vcc_lo, 0, v10, vcc_lo
	v_add_co_u32 v2, vcc_lo, v2, v6
	v_add_co_ci_u32_e32 v3, vcc_lo, v3, v7, vcc_lo
	v_mul_hi_u32 v6, s0, v2
	v_mul_lo_u32 v10, s30, v2
	v_mul_lo_u32 v7, s0, v3
	v_add_nc_u32_e32 v6, v6, v7
	v_mul_lo_u32 v7, s0, v2
	v_add_nc_u32_e32 v6, v6, v10
	v_mul_hi_u32 v10, v2, v7
	v_mul_lo_u32 v11, v2, v6
	v_mul_hi_u32 v12, v2, v6
	v_mul_hi_u32 v13, v3, v7
	v_mul_lo_u32 v7, v3, v7
	v_mul_hi_u32 v14, v3, v6
	v_mul_lo_u32 v6, v3, v6
	v_add_co_u32 v10, vcc_lo, v10, v11
	v_add_co_ci_u32_e32 v11, vcc_lo, 0, v12, vcc_lo
	v_add_co_u32 v7, vcc_lo, v10, v7
	v_add_co_ci_u32_e32 v7, vcc_lo, v11, v13, vcc_lo
	v_add_co_ci_u32_e32 v10, vcc_lo, 0, v14, vcc_lo
	v_add_co_u32 v6, vcc_lo, v7, v6
	v_add_co_ci_u32_e32 v7, vcc_lo, 0, v10, vcc_lo
	v_add_co_u32 v6, vcc_lo, v2, v6
	v_add_co_ci_u32_e32 v10, vcc_lo, v3, v7, vcc_lo
	v_mul_hi_u32 v12, v8, v6
	v_mad_u64_u32 v[6:7], null, v9, v6, 0
	v_mad_u64_u32 v[2:3], null, v8, v10, 0
	v_mad_u64_u32 v[10:11], null, v9, v10, 0
	v_add_co_u32 v2, vcc_lo, v12, v2
	v_add_co_ci_u32_e32 v3, vcc_lo, 0, v3, vcc_lo
	v_add_co_u32 v2, vcc_lo, v2, v6
	v_add_co_ci_u32_e32 v2, vcc_lo, v3, v7, vcc_lo
	v_add_co_ci_u32_e32 v3, vcc_lo, 0, v11, vcc_lo
	v_add_co_u32 v6, vcc_lo, v2, v10
	v_add_co_ci_u32_e32 v7, vcc_lo, 0, v3, vcc_lo
	v_mul_lo_u32 v10, s29, v6
	v_mad_u64_u32 v[2:3], null, s28, v6, 0
	v_mul_lo_u32 v11, s28, v7
	v_sub_co_u32 v2, vcc_lo, v8, v2
	v_add3_u32 v3, v3, v11, v10
	v_sub_nc_u32_e32 v10, v9, v3
	v_subrev_co_ci_u32_e64 v10, s0, s29, v10, vcc_lo
	v_add_co_u32 v11, s0, v6, 2
	v_add_co_ci_u32_e64 v12, s0, 0, v7, s0
	v_sub_co_u32 v13, s0, v2, s28
	v_sub_co_ci_u32_e32 v3, vcc_lo, v9, v3, vcc_lo
	v_subrev_co_ci_u32_e64 v10, s0, 0, v10, s0
	v_cmp_le_u32_e32 vcc_lo, s28, v13
	v_cmp_eq_u32_e64 s0, s29, v3
	v_cndmask_b32_e64 v13, 0, -1, vcc_lo
	v_cmp_le_u32_e32 vcc_lo, s29, v10
	v_cndmask_b32_e64 v14, 0, -1, vcc_lo
	v_cmp_le_u32_e32 vcc_lo, s28, v2
	;; [unrolled: 2-line block ×3, first 2 shown]
	v_cndmask_b32_e64 v15, 0, -1, vcc_lo
	v_cmp_eq_u32_e32 vcc_lo, s29, v10
	v_cndmask_b32_e64 v2, v15, v2, s0
	v_cndmask_b32_e32 v10, v14, v13, vcc_lo
	v_add_co_u32 v13, vcc_lo, v6, 1
	v_add_co_ci_u32_e32 v14, vcc_lo, 0, v7, vcc_lo
	v_cmp_ne_u32_e32 vcc_lo, 0, v10
	v_cndmask_b32_e32 v3, v14, v12, vcc_lo
	v_cndmask_b32_e32 v10, v13, v11, vcc_lo
	v_cmp_ne_u32_e32 vcc_lo, 0, v2
	v_cndmask_b32_e32 v7, v7, v3, vcc_lo
	v_cndmask_b32_e32 v6, v6, v10, vcc_lo
.LBB0_4:                                ;   in Loop: Header=BB0_2 Depth=1
	s_andn2_saveexec_b32 s0, s1
	s_cbranch_execz .LBB0_6
; %bb.5:                                ;   in Loop: Header=BB0_2 Depth=1
	v_cvt_f32_u32_e32 v2, s28
	s_sub_i32 s1, 0, s28
	v_rcp_iflag_f32_e32 v2, v2
	v_mul_f32_e32 v2, 0x4f7ffffe, v2
	v_cvt_u32_f32_e32 v2, v2
	v_mul_lo_u32 v3, s1, v2
	v_mul_hi_u32 v3, v2, v3
	v_add_nc_u32_e32 v2, v2, v3
	v_mul_hi_u32 v2, v8, v2
	v_mul_lo_u32 v3, v2, s28
	v_add_nc_u32_e32 v6, 1, v2
	v_sub_nc_u32_e32 v3, v8, v3
	v_subrev_nc_u32_e32 v7, s28, v3
	v_cmp_le_u32_e32 vcc_lo, s28, v3
	v_cndmask_b32_e32 v3, v3, v7, vcc_lo
	v_cndmask_b32_e32 v2, v2, v6, vcc_lo
	v_mov_b32_e32 v7, v1
	v_cmp_le_u32_e32 vcc_lo, s28, v3
	v_add_nc_u32_e32 v6, 1, v2
	v_cndmask_b32_e32 v6, v2, v6, vcc_lo
.LBB0_6:                                ;   in Loop: Header=BB0_2 Depth=1
	s_or_b32 exec_lo, exec_lo, s0
	v_mul_lo_u32 v10, v7, s28
	v_mul_lo_u32 v11, v6, s29
	s_load_dwordx2 s[0:1], s[22:23], 0x0
	v_mad_u64_u32 v[2:3], null, v6, s28, 0
	s_load_dwordx2 s[28:29], s[6:7], 0x0
	s_add_u32 s26, s26, 1
	s_addc_u32 s27, s27, 0
	s_add_u32 s6, s6, 8
	s_addc_u32 s7, s7, 0
	s_add_u32 s22, s22, 8
	v_add3_u32 v3, v3, v11, v10
	v_sub_co_u32 v2, vcc_lo, v8, v2
	s_addc_u32 s23, s23, 0
	s_add_u32 s24, s24, 8
	v_sub_co_ci_u32_e32 v3, vcc_lo, v9, v3, vcc_lo
	s_addc_u32 s25, s25, 0
	s_waitcnt lgkmcnt(0)
	v_mul_lo_u32 v8, s0, v3
	v_mul_lo_u32 v9, s1, v2
	v_mad_u64_u32 v[24:25], null, s0, v2, v[24:25]
	v_mul_lo_u32 v3, s28, v3
	v_mul_lo_u32 v10, s29, v2
	v_mad_u64_u32 v[4:5], null, s28, v2, v[4:5]
	v_cmp_ge_u64_e64 s0, s[26:27], s[14:15]
	v_add3_u32 v25, v9, v25, v8
	v_add3_u32 v5, v10, v5, v3
	s_and_b32 vcc_lo, exec_lo, s0
	s_cbranch_vccnz .LBB0_9
; %bb.7:                                ;   in Loop: Header=BB0_2 Depth=1
	v_mov_b32_e32 v9, v7
	v_mov_b32_e32 v8, v6
	s_branch .LBB0_2
.LBB0_8:
	v_mov_b32_e32 v4, v24
	v_mov_b32_e32 v6, v8
	;; [unrolled: 1-line block ×4, first 2 shown]
.LBB0_9:
	s_load_dwordx2 s[0:1], s[4:5], 0x28
	v_mul_hi_u32 v2, 0x20c49bb, v0
	s_lshl_b64 s[6:7], s[14:15], 3
                                        ; implicit-def: $vgpr74
                                        ; implicit-def: $vgpr75
                                        ; implicit-def: $vgpr76
                                        ; implicit-def: $vgpr77
                                        ; implicit-def: $vgpr78
	s_add_u32 s4, s18, s6
	s_addc_u32 s5, s19, s7
	s_waitcnt lgkmcnt(0)
	v_cmp_gt_u64_e32 vcc_lo, s[0:1], v[6:7]
	v_cmp_le_u64_e64 s0, s[0:1], v[6:7]
	s_and_saveexec_b32 s1, s0
	s_xor_b32 s0, exec_lo, s1
; %bb.10:
	v_mul_u32_u24_e32 v1, 0x7d, v2
                                        ; implicit-def: $vgpr2
                                        ; implicit-def: $vgpr24_vgpr25
	v_sub_nc_u32_e32 v74, v0, v1
                                        ; implicit-def: $vgpr0
	v_add_nc_u32_e32 v75, 0x7d, v74
	v_add_nc_u32_e32 v76, 0xfa, v74
	;; [unrolled: 1-line block ×4, first 2 shown]
; %bb.11:
	s_or_saveexec_b32 s1, s0
                                        ; implicit-def: $vgpr3
                                        ; implicit-def: $vgpr9
                                        ; implicit-def: $vgpr13
                                        ; implicit-def: $vgpr11
                                        ; implicit-def: $vgpr1
                                        ; implicit-def: $vgpr17
                                        ; implicit-def: $vgpr19
                                        ; implicit-def: $vgpr23
                                        ; implicit-def: $vgpr21
                                        ; implicit-def: $vgpr15
                                        ; implicit-def: $vgpr27
                                        ; implicit-def: $vgpr31
                                        ; implicit-def: $vgpr35
                                        ; implicit-def: $vgpr33
                                        ; implicit-def: $vgpr29
                                        ; implicit-def: $vgpr37
                                        ; implicit-def: $vgpr41
                                        ; implicit-def: $vgpr45
                                        ; implicit-def: $vgpr43
                                        ; implicit-def: $vgpr39
                                        ; implicit-def: $vgpr47
                                        ; implicit-def: $vgpr49
                                        ; implicit-def: $vgpr53
                                        ; implicit-def: $vgpr51
                                        ; implicit-def: $vgpr55
	s_xor_b32 exec_lo, exec_lo, s1
	s_cbranch_execz .LBB0_13
; %bb.12:
	s_add_u32 s6, s16, s6
	s_addc_u32 s7, s17, s7
	v_mul_u32_u24_e32 v1, 0x7d, v2
	s_load_dwordx2 s[6:7], s[6:7], 0x0
	v_lshlrev_b64 v[2:3], 3, v[24:25]
	v_sub_nc_u32_e32 v74, v0, v1
	v_add_nc_u32_e32 v17, 0x271, v74
	v_mad_u64_u32 v[0:1], null, s20, v74, 0
	v_add_nc_u32_e32 v20, 0x4e2, v74
	v_add_nc_u32_e32 v21, 0x753, v74
	v_mad_u64_u32 v[8:9], null, s20, v17, 0
	v_add_nc_u32_e32 v22, 0x9c4, v74
	v_mad_u64_u32 v[10:11], null, s20, v20, 0
	v_mad_u64_u32 v[14:15], null, s21, v74, v[1:2]
	s_waitcnt lgkmcnt(0)
	v_mul_lo_u32 v18, s7, v6
	v_mul_lo_u32 v19, s6, v7
	v_mad_u64_u32 v[12:13], null, s6, v6, 0
	v_mov_b32_e32 v1, v9
	v_mad_u64_u32 v[15:16], null, s20, v21, 0
	v_mov_b32_e32 v9, v11
	v_add_nc_u32_e32 v75, 0x7d, v74
	v_add_nc_u32_e32 v23, 0x55f, v74
	v_add3_u32 v13, v13, v19, v18
	v_mad_u64_u32 v[17:18], null, s21, v17, v[1:2]
	v_mov_b32_e32 v1, v14
	v_mad_u64_u32 v[18:19], null, s20, v22, 0
	v_lshlrev_b64 v[11:12], 3, v[12:13]
	v_mad_u64_u32 v[13:14], null, s21, v20, v[9:10]
	v_mov_b32_e32 v14, v16
	v_mov_b32_e32 v9, v17
	v_lshlrev_b64 v[0:1], 3, v[0:1]
	v_add_co_u32 v16, s0, s8, v11
	v_add_co_ci_u32_e64 v12, s0, s9, v12, s0
	v_mov_b32_e32 v11, v13
	v_add_co_u32 v87, s0, v16, v2
	v_add_co_ci_u32_e64 v88, s0, v12, v3, s0
	v_lshlrev_b64 v[2:3], 3, v[8:9]
	v_mad_u64_u32 v[8:9], null, s21, v21, v[14:15]
	v_add_co_u32 v0, s0, v87, v0
	v_lshlrev_b64 v[9:10], 3, v[10:11]
	v_mad_u64_u32 v[12:13], null, s20, v75, 0
	v_add_co_ci_u32_e64 v1, s0, v88, v1, s0
	v_add_co_u32 v2, s0, v87, v2
	v_mov_b32_e32 v11, v19
	v_mov_b32_e32 v16, v8
	v_add_nc_u32_e32 v21, 0x2ee, v74
	v_add_co_ci_u32_e64 v3, s0, v88, v3, s0
	v_add_co_u32 v8, s0, v87, v9
	v_mad_u64_u32 v[19:20], null, s21, v22, v[11:12]
	v_add_co_ci_u32_e64 v9, s0, v88, v10, s0
	v_lshlrev_b64 v[10:11], 3, v[15:16]
	v_mad_u64_u32 v[14:15], null, s20, v21, 0
	v_add_nc_u32_e32 v25, 0x7d0, v74
	v_add_nc_u32_e32 v27, 0xa41, v74
	;; [unrolled: 1-line block ×3, first 2 shown]
	v_add_co_u32 v10, s0, v87, v10
	v_add_co_ci_u32_e64 v11, s0, v88, v11, s0
	v_mad_u64_u32 v[16:17], null, s21, v75, v[13:14]
	v_lshlrev_b64 v[17:18], 3, v[18:19]
	v_mad_u64_u32 v[19:20], null, s20, v23, 0
	v_add_nc_u32_e32 v31, 0x36b, v74
	v_add_nc_u32_e32 v33, 0x5dc, v74
	;; [unrolled: 1-line block ×3, first 2 shown]
	v_mov_b32_e32 v13, v16
	v_mad_u64_u32 v[15:16], null, s21, v21, v[15:16]
	v_add_co_u32 v16, s0, v87, v17
	v_add_co_ci_u32_e64 v17, s0, v88, v18, s0
	v_mov_b32_e32 v18, v20
	v_mad_u64_u32 v[21:22], null, s20, v25, 0
	v_lshlrev_b64 v[12:13], 3, v[12:13]
	v_lshlrev_b64 v[14:15], 3, v[14:15]
	v_mad_u64_u32 v[23:24], null, s21, v23, v[18:19]
	v_add_nc_u32_e32 v38, 0xabe, v74
	v_add_nc_u32_e32 v77, 0x177, v74
	v_mov_b32_e32 v18, v22
	v_add_co_u32 v12, s0, v87, v12
	v_add_co_ci_u32_e64 v13, s0, v88, v13, s0
	v_mov_b32_e32 v20, v23
	v_mad_u64_u32 v[23:24], null, s20, v27, 0
	v_mad_u64_u32 v[25:26], null, s21, v25, v[18:19]
	v_lshlrev_b64 v[18:19], 3, v[19:20]
	v_add_co_u32 v14, s0, v87, v14
	v_add_co_ci_u32_e64 v15, s0, v88, v15, s0
	v_mov_b32_e32 v20, v24
	v_mov_b32_e32 v22, v25
	v_mad_u64_u32 v[25:26], null, s20, v76, 0
	v_add_co_u32 v18, s0, v87, v18
	v_mad_u64_u32 v[27:28], null, s21, v27, v[20:21]
	v_lshlrev_b64 v[20:21], 3, v[21:22]
	v_add_co_ci_u32_e64 v19, s0, v88, v19, s0
	v_mov_b32_e32 v22, v26
	v_add_nc_u32_e32 v41, 0x659, v74
	v_add_nc_u32_e32 v42, 0x8ca, v74
	v_mov_b32_e32 v24, v27
	v_mad_u64_u32 v[27:28], null, s20, v31, 0
	v_mad_u64_u32 v[29:30], null, s21, v76, v[22:23]
	v_lshlrev_b64 v[22:23], 3, v[23:24]
	v_add_co_u32 v20, s0, v87, v20
	v_add_co_ci_u32_e64 v21, s0, v88, v21, s0
	v_mov_b32_e32 v24, v28
	v_mov_b32_e32 v26, v29
	v_mad_u64_u32 v[29:30], null, s20, v33, 0
	v_add_co_u32 v22, s0, v87, v22
	v_mad_u64_u32 v[31:32], null, s21, v31, v[24:25]
	v_lshlrev_b64 v[24:25], 3, v[25:26]
	v_add_co_ci_u32_e64 v23, s0, v88, v23, s0
	v_mov_b32_e32 v26, v30
	v_add_nc_u32_e32 v78, 0x1f4, v74
	v_add_nc_u32_e32 v43, 0x947, v74
	v_mov_b32_e32 v28, v31
	v_mad_u64_u32 v[31:32], null, s20, v35, 0
	v_mad_u64_u32 v[33:34], null, s21, v33, v[26:27]
	v_lshlrev_b64 v[26:27], 3, v[27:28]
	v_add_co_u32 v24, s0, v87, v24
	v_add_co_ci_u32_e64 v25, s0, v88, v25, s0
	v_mov_b32_e32 v28, v32
	v_mov_b32_e32 v30, v33
	v_mad_u64_u32 v[33:34], null, s20, v38, 0
	v_add_co_u32 v26, s0, v87, v26
	v_mad_u64_u32 v[35:36], null, s21, v35, v[28:29]
	v_lshlrev_b64 v[28:29], 3, v[29:30]
	v_mad_u64_u32 v[36:37], null, s20, v77, 0
	v_mov_b32_e32 v30, v34
	v_add_co_ci_u32_e64 v27, s0, v88, v27, s0
	v_mov_b32_e32 v32, v35
	v_add_co_u32 v56, s0, v87, v28
	v_mad_u64_u32 v[34:35], null, s21, v38, v[30:31]
	v_add_co_ci_u32_e64 v57, s0, v88, v29, s0
	v_lshlrev_b64 v[29:30], 3, v[31:32]
	v_mov_b32_e32 v28, v37
	v_add_nc_u32_e32 v35, 0x3e8, v74
	v_mad_u64_u32 v[31:32], null, s21, v77, v[28:29]
	v_mad_u64_u32 v[38:39], null, s20, v35, 0
	v_add_co_u32 v58, s0, v87, v29
	v_lshlrev_b64 v[28:29], 3, v[33:34]
	v_mad_u64_u32 v[33:34], null, s20, v42, 0
	v_mov_b32_e32 v37, v31
	v_mad_u64_u32 v[31:32], null, s20, v41, 0
	v_add_co_ci_u32_e64 v59, s0, v88, v30, s0
	v_mov_b32_e32 v30, v39
	v_add_co_u32 v60, s0, v87, v28
	v_add_co_ci_u32_e64 v61, s0, v88, v29, s0
	v_mad_u64_u32 v[39:40], null, s21, v35, v[30:31]
	v_lshlrev_b64 v[29:30], 3, v[36:37]
	v_mov_b32_e32 v28, v32
	v_mov_b32_e32 v32, v34
	v_mad_u64_u32 v[34:35], null, s21, v41, v[28:29]
	v_mad_u64_u32 v[35:36], null, s21, v42, v[32:33]
	v_add_co_u32 v62, s0, v87, v29
	v_lshlrev_b64 v[28:29], 3, v[38:39]
	v_add_nc_u32_e32 v39, 0xb3b, v74
	v_mov_b32_e32 v32, v34
	v_add_co_ci_u32_e64 v63, s0, v88, v30, s0
	v_mov_b32_e32 v34, v35
	v_mad_u64_u32 v[35:36], null, s20, v39, 0
	v_mad_u64_u32 v[37:38], null, s20, v78, 0
	v_add_co_u32 v64, s0, v87, v28
	v_add_co_ci_u32_e64 v65, s0, v88, v29, s0
	v_lshlrev_b64 v[28:29], 3, v[31:32]
	v_lshlrev_b64 v[31:32], 3, v[33:34]
	v_mov_b32_e32 v30, v36
	v_mov_b32_e32 v33, v38
	v_add_nc_u32_e32 v41, 0x465, v74
	v_add_nc_u32_e32 v42, 0x6d6, v74
	v_add_co_u32 v66, s0, v87, v28
	v_mad_u64_u32 v[38:39], null, s21, v39, v[30:31]
	v_mad_u64_u32 v[33:34], null, s21, v78, v[33:34]
	;; [unrolled: 1-line block ×3, first 2 shown]
	v_add_co_ci_u32_e64 v67, s0, v88, v29, s0
	v_mov_b32_e32 v36, v38
	v_add_co_u32 v68, s0, v87, v31
	v_mad_u64_u32 v[28:29], null, s20, v42, 0
	v_add_co_ci_u32_e64 v69, s0, v88, v32, s0
	v_lshlrev_b64 v[31:32], 3, v[35:36]
	v_mov_b32_e32 v38, v33
	v_mov_b32_e32 v30, v40
	v_mad_u64_u32 v[35:36], null, s20, v43, 0
	v_lshlrev_b64 v[33:34], 3, v[37:38]
	v_mad_u64_u32 v[37:38], null, s21, v41, v[30:31]
	v_mad_u64_u32 v[29:30], null, s21, v42, v[29:30]
	v_mov_b32_e32 v30, v36
	v_add_co_u32 v70, s0, v87, v31
	v_add_co_ci_u32_e64 v71, s0, v88, v32, s0
	v_mov_b32_e32 v40, v37
	v_mad_u64_u32 v[30:31], null, s21, v43, v[30:31]
	v_add_nc_u32_e32 v37, 0xbb8, v74
	v_add_co_u32 v79, s0, v87, v33
	v_lshlrev_b64 v[31:32], 3, v[39:40]
	v_add_co_ci_u32_e64 v80, s0, v88, v34, s0
	v_mad_u64_u32 v[72:73], null, s20, v37, 0
	v_mov_b32_e32 v36, v30
	v_add_co_u32 v81, s0, v87, v31
	v_add_co_ci_u32_e64 v82, s0, v88, v32, s0
	v_lshlrev_b64 v[31:32], 3, v[35:36]
	v_mov_b32_e32 v30, v73
	v_lshlrev_b64 v[28:29], 3, v[28:29]
	v_mad_u64_u32 v[33:34], null, s21, v37, v[30:31]
	v_add_co_u32 v83, s0, v87, v28
	v_add_co_ci_u32_e64 v84, s0, v88, v29, s0
	v_add_co_u32 v85, s0, v87, v31
	v_mov_b32_e32 v73, v33
	v_add_co_ci_u32_e64 v86, s0, v88, v32, s0
	s_clause 0x13
	global_load_dwordx2 v[54:55], v[0:1], off
	global_load_dwordx2 v[50:51], v[2:3], off
	global_load_dwordx2 v[52:53], v[8:9], off
	global_load_dwordx2 v[48:49], v[10:11], off
	global_load_dwordx2 v[46:47], v[16:17], off
	global_load_dwordx2 v[38:39], v[12:13], off
	global_load_dwordx2 v[42:43], v[14:15], off
	global_load_dwordx2 v[44:45], v[18:19], off
	global_load_dwordx2 v[40:41], v[20:21], off
	global_load_dwordx2 v[36:37], v[22:23], off
	global_load_dwordx2 v[28:29], v[24:25], off
	global_load_dwordx2 v[32:33], v[26:27], off
	global_load_dwordx2 v[34:35], v[56:57], off
	global_load_dwordx2 v[30:31], v[58:59], off
	global_load_dwordx2 v[26:27], v[60:61], off
	global_load_dwordx2 v[14:15], v[62:63], off
	global_load_dwordx2 v[20:21], v[64:65], off
	global_load_dwordx2 v[22:23], v[66:67], off
	global_load_dwordx2 v[18:19], v[68:69], off
	global_load_dwordx2 v[16:17], v[70:71], off
	v_lshlrev_b64 v[0:1], 3, v[72:73]
	v_add_co_u32 v2, s0, v87, v0
	v_add_co_ci_u32_e64 v3, s0, v88, v1, s0
	s_clause 0x4
	global_load_dwordx2 v[0:1], v[79:80], off
	global_load_dwordx2 v[10:11], v[81:82], off
	;; [unrolled: 1-line block ×5, first 2 shown]
.LBB0_13:
	s_or_b32 exec_lo, exec_lo, s1
	s_waitcnt vmcnt(21)
	v_add_f32_e32 v24, v48, v52
	s_waitcnt vmcnt(20)
	v_sub_f32_e32 v57, v51, v47
	v_sub_f32_e32 v25, v50, v52
	;; [unrolled: 1-line block ×3, first 2 shown]
	v_add_f32_e32 v58, v46, v50
	v_fma_f32 v24, -0.5, v24, v54
	v_sub_f32_e32 v60, v53, v49
	v_add_f32_e32 v59, v50, v54
	v_add_f32_e32 v25, v56, v25
	v_fmac_f32_e32 v54, -0.5, v58
	v_fmamk_f32 v63, v57, 0x3f737871, v24
	v_fmac_f32_e32 v24, 0xbf737871, v57
	v_add_f32_e32 v58, v52, v59
	v_sub_f32_e32 v61, v52, v50
	v_fmamk_f32 v59, v60, 0xbf737871, v54
	v_fmac_f32_e32 v63, 0x3f167918, v60
	v_fmac_f32_e32 v24, 0xbf167918, v60
	;; [unrolled: 1-line block ×3, first 2 shown]
	v_sub_f32_e32 v62, v48, v46
	v_fmac_f32_e32 v59, 0x3f167918, v57
	v_fmac_f32_e32 v63, 0x3e9e377a, v25
	v_fmac_f32_e32 v24, 0x3e9e377a, v25
	s_waitcnt vmcnt(16)
	v_add_f32_e32 v25, v40, v44
	v_fmac_f32_e32 v54, 0xbf167918, v57
	v_add_f32_e32 v57, v42, v38
	s_waitcnt vmcnt(15)
	v_sub_f32_e32 v60, v43, v37
	v_add_f32_e32 v56, v62, v61
	v_fma_f32 v25, -0.5, v25, v38
	v_sub_f32_e32 v61, v42, v44
	v_sub_f32_e32 v62, v36, v40
	v_add_f32_e32 v57, v44, v57
	v_sub_f32_e32 v65, v45, v41
	v_fmamk_f32 v64, v60, 0x3f737871, v25
	v_add_f32_e32 v58, v48, v58
	v_fmac_f32_e32 v59, 0x3e9e377a, v56
	v_add_f32_e32 v61, v62, v61
	v_add_f32_e32 v57, v40, v57
	v_fmac_f32_e32 v64, 0x3f167918, v65
	v_fmac_f32_e32 v54, 0x3e9e377a, v56
	v_add_f32_e32 v56, v36, v42
	v_add_f32_e32 v58, v46, v58
	v_mad_u32_u24 v100, v74, 20, 0
	v_add_f32_e32 v57, v36, v57
	v_fmac_f32_e32 v64, 0x3e9e377a, v61
	v_mad_i32_i24 v79, v75, 20, 0
	v_fmac_f32_e32 v38, -0.5, v56
	ds_write2_b32 v100, v58, v63 offset1:1
	ds_write2_b32 v100, v59, v54 offset0:2 offset1:3
	ds_write_b32 v100, v24 offset:16
	ds_write2_b32 v79, v57, v64 offset1:1
	s_waitcnt vmcnt(11)
	v_add_f32_e32 v54, v30, v34
	v_sub_f32_e32 v56, v44, v42
	v_fmamk_f32 v24, v65, 0xbf737871, v38
	v_sub_f32_e32 v57, v40, v36
	v_fmac_f32_e32 v38, 0x3f737871, v65
	v_fmac_f32_e32 v25, 0xbf737871, v60
	v_add_f32_e32 v58, v32, v28
	v_fma_f32 v59, -0.5, v54, v28
	s_waitcnt vmcnt(10)
	v_sub_f32_e32 v62, v33, v27
	v_add_f32_e32 v54, v57, v56
	v_fmac_f32_e32 v24, 0x3f167918, v60
	v_fmac_f32_e32 v38, 0xbf167918, v60
	;; [unrolled: 1-line block ×3, first 2 shown]
	v_sub_f32_e32 v56, v32, v34
	v_sub_f32_e32 v57, v26, v30
	v_add_f32_e32 v58, v34, v58
	v_fmamk_f32 v63, v62, 0x3f737871, v59
	v_sub_f32_e32 v64, v35, v31
	v_fmac_f32_e32 v24, 0x3e9e377a, v54
	v_fmac_f32_e32 v38, 0x3e9e377a, v54
	;; [unrolled: 1-line block ×3, first 2 shown]
	v_add_f32_e32 v56, v57, v56
	v_add_f32_e32 v57, v30, v58
	v_fmac_f32_e32 v63, 0x3f167918, v64
	v_add_f32_e32 v58, v26, v32
	ds_write2_b32 v79, v24, v38 offset0:2 offset1:3
	ds_write_b32 v79, v25 offset:16
	v_sub_f32_e32 v24, v34, v32
	v_sub_f32_e32 v25, v30, v26
	s_waitcnt vmcnt(6)
	v_add_f32_e32 v38, v18, v22
	v_add_f32_e32 v57, v26, v57
	v_fmac_f32_e32 v63, 0x3e9e377a, v56
	v_mad_i32_i24 v54, v76, 20, 0
	v_fmac_f32_e32 v28, -0.5, v58
	v_fmac_f32_e32 v59, 0xbf737871, v62
	v_add_f32_e32 v24, v25, v24
	v_add_f32_e32 v25, v20, v14
	v_fma_f32 v58, -0.5, v38, v14
	s_waitcnt vmcnt(5)
	v_sub_f32_e32 v60, v21, v17
	ds_write2_b32 v54, v57, v63 offset1:1
	v_fmamk_f32 v57, v64, 0xbf737871, v28
	v_fmac_f32_e32 v28, 0x3f737871, v64
	v_fmac_f32_e32 v59, 0xbf167918, v64
	v_sub_f32_e32 v38, v20, v22
	v_sub_f32_e32 v61, v16, v18
	v_add_f32_e32 v25, v22, v25
	v_fmamk_f32 v63, v60, 0x3f737871, v58
	v_sub_f32_e32 v64, v23, v19
	v_fmac_f32_e32 v57, 0x3f167918, v62
	v_fmac_f32_e32 v28, 0xbf167918, v62
	v_fmac_f32_e32 v59, 0x3e9e377a, v56
	v_add_f32_e32 v56, v61, v38
	v_add_f32_e32 v25, v18, v25
	v_fmac_f32_e32 v63, 0x3f167918, v64
	v_fmac_f32_e32 v57, 0x3e9e377a, v24
	;; [unrolled: 1-line block ×3, first 2 shown]
	v_add_f32_e32 v24, v16, v20
	v_add_f32_e32 v25, v16, v25
	v_fmac_f32_e32 v63, 0x3e9e377a, v56
	v_mad_i32_i24 v38, v77, 20, 0
	ds_write2_b32 v54, v57, v28 offset0:2 offset1:3
	ds_write_b32 v54, v59 offset:16
	ds_write2_b32 v38, v25, v63 offset1:1
	v_fmac_f32_e32 v14, -0.5, v24
	s_waitcnt vmcnt(1)
	v_add_f32_e32 v25, v8, v12
	v_fmac_f32_e32 v58, 0xbf737871, v60
	v_sub_f32_e32 v28, v22, v20
	v_sub_f32_e32 v57, v18, v16
	v_fmamk_f32 v24, v64, 0xbf737871, v14
	v_fmac_f32_e32 v14, 0x3f737871, v64
	v_add_f32_e32 v59, v10, v0
	v_fma_f32 v25, -0.5, v25, v0
	s_waitcnt vmcnt(0)
	v_sub_f32_e32 v61, v11, v3
	v_fmac_f32_e32 v58, 0xbf167918, v64
	v_add_f32_e32 v28, v57, v28
	v_sub_f32_e32 v57, v10, v12
	v_sub_f32_e32 v62, v2, v8
	v_add_f32_e32 v59, v12, v59
	v_fmamk_f32 v63, v61, 0x3f737871, v25
	v_sub_f32_e32 v64, v13, v9
	v_fmac_f32_e32 v24, 0x3f167918, v60
	v_fmac_f32_e32 v14, 0xbf167918, v60
	v_add_f32_e32 v57, v62, v57
	v_add_f32_e32 v59, v8, v59
	v_fmac_f32_e32 v63, 0x3f167918, v64
	v_fmac_f32_e32 v24, 0x3e9e377a, v28
	;; [unrolled: 1-line block ×4, first 2 shown]
	v_add_f32_e32 v28, v2, v59
	v_fmac_f32_e32 v63, 0x3e9e377a, v57
	v_mad_i32_i24 v80, v78, 20, 0
	ds_write2_b32 v38, v24, v14 offset0:2 offset1:3
	v_add_f32_e32 v24, v2, v10
	v_add_f32_e32 v14, v49, v53
	ds_write_b32 v38, v58 offset:16
	ds_write2_b32 v80, v28, v63 offset1:1
	v_add_f32_e32 v28, v47, v51
	v_fmac_f32_e32 v0, -0.5, v24
	v_fma_f32 v101, -0.5, v14, v55
	v_add_f32_e32 v102, v51, v55
	v_sub_f32_e32 v14, v12, v10
	v_fmac_f32_e32 v55, -0.5, v28
	v_sub_f32_e32 v24, v8, v2
	v_fmamk_f32 v28, v64, 0xbf737871, v0
	v_fmac_f32_e32 v0, 0x3f737871, v64
	v_fmac_f32_e32 v25, 0xbf737871, v61
	v_sub_f32_e32 v103, v52, v48
	v_add_f32_e32 v14, v24, v14
	v_fmac_f32_e32 v28, 0x3f167918, v61
	v_fmac_f32_e32 v0, 0xbf167918, v61
	;; [unrolled: 1-line block ×3, first 2 shown]
	v_sub_f32_e32 v24, v53, v51
	v_sub_f32_e32 v48, v49, v47
	v_fmac_f32_e32 v28, 0x3e9e377a, v14
	v_fmac_f32_e32 v0, 0x3e9e377a, v14
	;; [unrolled: 1-line block ×3, first 2 shown]
	ds_write2_b32 v80, v28, v0 offset0:2 offset1:3
	ds_write_b32 v80, v25 offset:16
	v_add_f32_e32 v0, v53, v102
	v_fmamk_f32 v104, v103, 0x3f737871, v55
	v_sub_f32_e32 v105, v50, v46
	v_fmac_f32_e32 v55, 0xbf737871, v103
	v_lshlrev_b32_e32 v14, 4, v74
	v_add_f32_e32 v0, v49, v0
	v_add_f32_e32 v24, v48, v24
	v_fmac_f32_e32 v104, 0xbf167918, v105
	v_fmac_f32_e32 v55, 0x3f167918, v105
	v_sub_nc_u32_e32 v46, v100, v14
	v_sub_f32_e32 v28, v51, v53
	v_sub_f32_e32 v49, v47, v49
	v_add_f32_e32 v51, v41, v45
	v_add_f32_e32 v0, v47, v0
	;; [unrolled: 1-line block ×3, first 2 shown]
	v_lshlrev_b32_e32 v84, 4, v75
	v_lshlrev_b32_e32 v85, 4, v76
	;; [unrolled: 1-line block ×4, first 2 shown]
	v_fmac_f32_e32 v104, 0x3e9e377a, v24
	v_fmac_f32_e32 v55, 0x3e9e377a, v24
	v_add_nc_u32_e32 v90, 0x2c00, v46
	v_fmamk_f32 v53, v105, 0xbf737871, v101
	v_add_f32_e32 v28, v49, v28
	v_fma_f32 v49, -0.5, v51, v39
	v_add_f32_e32 v51, v43, v39
	v_fmac_f32_e32 v39, -0.5, v47
	v_sub_f32_e32 v40, v44, v40
	v_fmac_f32_e32 v101, 0x3f737871, v105
	v_sub_nc_u32_e32 v92, v79, v84
	v_sub_nc_u32_e32 v93, v54, v85
	;; [unrolled: 1-line block ×4, first 2 shown]
	s_load_dwordx2 s[4:5], s[4:5], 0x0
	s_waitcnt lgkmcnt(0)
	s_barrier
	buffer_gl0_inv
	v_add_nc_u32_e32 v48, 0x800, v46
	v_add_nc_u32_e32 v52, 0x1000, v46
	;; [unrolled: 1-line block ×9, first 2 shown]
	ds_read_b32 v99, v46
	ds_read_b32 v98, v92
	;; [unrolled: 1-line block ×5, first 2 shown]
	ds_read2_b32 v[72:73], v48 offset0:113 offset1:238
	ds_read2_b32 v[64:65], v52 offset0:101 offset1:226
	;; [unrolled: 1-line block ×10, first 2 shown]
	s_waitcnt lgkmcnt(0)
	s_barrier
	buffer_gl0_inv
	ds_write2_b32 v100, v104, v55 offset0:2 offset1:3
	v_fmac_f32_e32 v53, 0xbf167918, v103
	v_sub_f32_e32 v44, v45, v43
	v_sub_f32_e32 v47, v41, v37
	v_fmamk_f32 v55, v40, 0x3f737871, v39
	v_sub_f32_e32 v36, v42, v36
	v_fmac_f32_e32 v39, 0xbf737871, v40
	v_fmac_f32_e32 v101, 0x3f167918, v103
	;; [unrolled: 1-line block ×3, first 2 shown]
	v_add_f32_e32 v42, v47, v44
	v_fmac_f32_e32 v55, 0xbf167918, v36
	v_fmac_f32_e32 v39, 0x3f167918, v36
	;; [unrolled: 1-line block ×3, first 2 shown]
	v_add_f32_e32 v28, v45, v51
	ds_write2_b32 v100, v0, v53 offset1:1
	v_fmac_f32_e32 v55, 0x3e9e377a, v42
	v_fmac_f32_e32 v39, 0x3e9e377a, v42
	ds_write_b32 v100, v101 offset:16
	v_add_f32_e32 v0, v41, v28
	v_sub_f32_e32 v28, v43, v45
	v_sub_f32_e32 v41, v37, v41
	ds_write2_b32 v79, v55, v39 offset0:2 offset1:3
	v_add_f32_e32 v39, v31, v35
	v_add_f32_e32 v0, v37, v0
	;; [unrolled: 1-line block ×4, first 2 shown]
	v_fmamk_f32 v41, v36, 0xbf737871, v49
	v_fma_f32 v39, -0.5, v39, v29
	v_add_f32_e32 v42, v33, v29
	v_fmac_f32_e32 v29, -0.5, v37
	v_sub_f32_e32 v30, v34, v30
	v_fmac_f32_e32 v49, 0x3f737871, v36
	v_fmac_f32_e32 v41, 0xbf167918, v40
	v_sub_f32_e32 v34, v35, v33
	v_sub_f32_e32 v36, v31, v27
	v_fmamk_f32 v37, v30, 0x3f737871, v29
	v_sub_f32_e32 v26, v32, v26
	v_fmac_f32_e32 v29, 0xbf737871, v30
	v_fmac_f32_e32 v49, 0x3f167918, v40
	;; [unrolled: 1-line block ×3, first 2 shown]
	v_add_f32_e32 v32, v36, v34
	v_fmac_f32_e32 v37, 0xbf167918, v26
	v_fmac_f32_e32 v29, 0x3f167918, v26
	;; [unrolled: 1-line block ×3, first 2 shown]
	v_add_f32_e32 v28, v35, v42
	ds_write2_b32 v79, v0, v41 offset1:1
	v_fmac_f32_e32 v37, 0x3e9e377a, v32
	v_fmac_f32_e32 v29, 0x3e9e377a, v32
	ds_write_b32 v79, v49 offset:16
	v_add_f32_e32 v0, v31, v28
	v_sub_f32_e32 v28, v33, v35
	v_sub_f32_e32 v31, v27, v31
	ds_write2_b32 v54, v37, v29 offset0:2 offset1:3
	v_add_f32_e32 v29, v19, v23
	v_add_f32_e32 v0, v27, v0
	;; [unrolled: 1-line block ×4, first 2 shown]
	v_fmamk_f32 v31, v26, 0xbf737871, v39
	v_fma_f32 v29, -0.5, v29, v15
	v_add_f32_e32 v32, v21, v15
	v_fmac_f32_e32 v15, -0.5, v27
	v_sub_f32_e32 v18, v22, v18
	v_fmac_f32_e32 v31, 0xbf167918, v30
	v_fmac_f32_e32 v39, 0x3f737871, v26
	v_sub_f32_e32 v22, v23, v21
	v_sub_f32_e32 v26, v19, v17
	v_fmamk_f32 v27, v18, 0x3f737871, v15
	v_sub_f32_e32 v16, v20, v16
	v_fmac_f32_e32 v15, 0xbf737871, v18
	v_fmac_f32_e32 v31, 0x3e9e377a, v28
	v_add_f32_e32 v20, v26, v22
	v_add_f32_e32 v22, v23, v32
	v_fmac_f32_e32 v27, 0xbf167918, v16
	v_fmac_f32_e32 v15, 0x3f167918, v16
	ds_write2_b32 v54, v0, v31 offset1:1
	v_fmac_f32_e32 v39, 0x3f167918, v30
	v_add_f32_e32 v0, v19, v22
	v_fmac_f32_e32 v27, 0x3e9e377a, v20
	v_fmac_f32_e32 v15, 0x3e9e377a, v20
	v_sub_f32_e32 v20, v21, v23
	v_sub_f32_e32 v19, v17, v19
	v_add_f32_e32 v21, v9, v13
	v_add_f32_e32 v0, v17, v0
	;; [unrolled: 1-line block ×5, first 2 shown]
	v_fmamk_f32 v20, v16, 0xbf737871, v29
	v_fma_f32 v21, -0.5, v21, v1
	v_fmac_f32_e32 v1, -0.5, v17
	v_sub_f32_e32 v8, v12, v8
	v_fmac_f32_e32 v39, 0x3e9e377a, v28
	v_fmac_f32_e32 v20, 0xbf167918, v18
	;; [unrolled: 1-line block ×3, first 2 shown]
	v_sub_f32_e32 v12, v13, v11
	v_sub_f32_e32 v16, v9, v3
	v_fmamk_f32 v17, v8, 0x3f737871, v1
	v_sub_f32_e32 v2, v10, v2
	v_fmac_f32_e32 v1, 0xbf737871, v8
	v_fmac_f32_e32 v20, 0x3e9e377a, v19
	ds_write_b32 v54, v39 offset:16
	v_add_f32_e32 v10, v16, v12
	v_fmac_f32_e32 v17, 0xbf167918, v2
	ds_write2_b32 v38, v27, v15 offset0:2 offset1:3
	ds_write2_b32 v38, v0, v20 offset1:1
	v_fmac_f32_e32 v1, 0x3f167918, v2
	v_and_b32_e32 v32, 0xff, v74
	v_add_f32_e32 v0, v13, v22
	v_fmac_f32_e32 v17, 0x3e9e377a, v10
	v_fmamk_f32 v12, v2, 0xbf737871, v21
	v_fmac_f32_e32 v1, 0x3e9e377a, v10
	v_sub_f32_e32 v10, v11, v13
	v_mul_lo_u16 v11, 0xcd, v32
	v_add_f32_e32 v0, v9, v0
	v_sub_f32_e32 v9, v3, v9
	v_fmac_f32_e32 v21, 0x3f737871, v2
	v_fmac_f32_e32 v29, 0x3f167918, v18
	v_lshrrev_b16 v16, 10, v11
	v_and_b32_e32 v30, 0xff, v75
	v_add_f32_e32 v2, v9, v10
	v_fmac_f32_e32 v12, 0xbf167918, v8
	v_fmac_f32_e32 v21, 0x3f167918, v8
	;; [unrolled: 1-line block ×3, first 2 shown]
	v_mul_lo_u16 v8, v16, 5
	v_mul_lo_u16 v9, 0xcd, v30
	v_fmac_f32_e32 v12, 0x3e9e377a, v2
	v_fmac_f32_e32 v21, 0x3e9e377a, v2
	v_mov_b32_e32 v2, 0xcccd
	ds_write_b32 v38, v29 offset:16
	v_add_f32_e32 v0, v3, v0
	v_sub_nc_u16 v31, v74, v8
	v_lshrrev_b16 v18, 10, v9
	v_mov_b32_e32 v29, 5
	ds_write2_b32 v80, v17, v1 offset0:2 offset1:3
	v_mul_u32_u24_sdwa v1, v76, v2 dst_sel:DWORD dst_unused:UNUSED_PAD src0_sel:WORD_0 src1_sel:DWORD
	ds_write2_b32 v80, v0, v12 offset1:1
	ds_write_b32 v80, v21 offset:16
	v_mul_lo_u16 v0, v18, 5
	v_lshlrev_b32_sdwa v3, v29, v31 dst_sel:DWORD dst_unused:UNUSED_PAD src0_sel:DWORD src1_sel:BYTE_0
	s_waitcnt lgkmcnt(0)
	v_lshrrev_b32_e32 v11, 18, v1
	s_barrier
	v_sub_nc_u16 v23, v75, v0
	buffer_gl0_inv
	global_load_dwordx4 v[33:36], v3, s[12:13]
	v_mul_lo_u16 v0, v11, 5
	v_mul_u32_u24_sdwa v1, v77, v2 dst_sel:DWORD dst_unused:UNUSED_PAD src0_sel:WORD_0 src1_sel:DWORD
	v_lshlrev_b32_sdwa v12, v29, v23 dst_sel:DWORD dst_unused:UNUSED_PAD src0_sel:DWORD src1_sel:BYTE_0
	v_mul_u32_u24_e32 v11, 0x64, v11
	v_sub_nc_u16 v17, v76, v0
	v_lshrrev_b32_e32 v10, 18, v1
	global_load_dwordx4 v[39:42], v12, s[12:13]
	v_mul_u32_u24_sdwa v0, v78, v2 dst_sel:DWORD dst_unused:UNUSED_PAD src0_sel:WORD_0 src1_sel:DWORD
	v_lshlrev_b32_sdwa v1, v29, v17 dst_sel:DWORD dst_unused:UNUSED_PAD src0_sel:DWORD src1_sel:WORD_0
	v_mul_lo_u16 v2, v10, 5
	v_mul_u32_u24_e32 v10, 0x64, v10
	v_lshrrev_b32_e32 v8, 18, v0
	global_load_dwordx4 v[101:104], v1, s[12:13]
	v_sub_nc_u16 v15, v77, v2
	v_mul_lo_u16 v0, v8, 5
	v_mul_u32_u24_e32 v8, 0x64, v8
	v_lshlrev_b32_sdwa v2, v29, v15 dst_sel:DWORD dst_unused:UNUSED_PAD src0_sel:DWORD src1_sel:WORD_0
	v_sub_nc_u16 v9, v78, v0
	global_load_dwordx4 v[105:108], v2, s[12:13]
	v_lshlrev_b32_sdwa v0, v29, v9 dst_sel:DWORD dst_unused:UNUSED_PAD src0_sel:DWORD src1_sel:WORD_0
	s_clause 0x5
	global_load_dwordx4 v[109:112], v0, s[12:13]
	global_load_dwordx4 v[113:116], v3, s[12:13] offset:16
	global_load_dwordx4 v[117:120], v12, s[12:13] offset:16
	;; [unrolled: 1-line block ×5, first 2 shown]
	ds_read2_b32 v[20:21], v48 offset0:113 offset1:238
	ds_read2_b32 v[26:27], v52 offset0:101 offset1:226
	;; [unrolled: 1-line block ×4, first 2 shown]
	s_waitcnt vmcnt(9) lgkmcnt(3)
	v_mul_f32_e32 v19, v20, v34
	v_mul_f32_e32 v12, v72, v34
	s_waitcnt lgkmcnt(2)
	v_mul_f32_e32 v22, v27, v36
	v_mul_f32_e32 v13, v65, v36
	v_fma_f32 v19, v72, v33, -v19
	v_fmac_f32_e32 v12, v20, v33
	ds_read2_b32 v[33:34], v89 offset0:89 offset1:214
	s_waitcnt vmcnt(8)
	v_mul_f32_e32 v20, v21, v40
	v_mul_f32_e32 v72, v73, v40
	v_fma_f32 v22, v65, v35, -v22
	v_fmac_f32_e32 v13, v27, v35
	ds_read2_b32 v[35:36], v81 offset0:71 offset1:196
	v_fma_f32 v100, v73, v39, -v20
	s_waitcnt lgkmcnt(3)
	v_mul_f32_e32 v20, v43, v42
	v_mul_f32_e32 v73, v70, v42
	v_fmac_f32_e32 v72, v21, v39
	s_waitcnt vmcnt(7)
	v_mul_f32_e32 v21, v44, v104
	v_mul_f32_e32 v51, v68, v102
	v_fma_f32 v70, v70, v41, -v20
	s_waitcnt lgkmcnt(2)
	v_mul_f32_e32 v20, v129, v102
	v_mul_f32_e32 v49, v71, v104
	v_fmac_f32_e32 v73, v43, v41
	v_fma_f32 v65, v71, v103, -v21
	ds_read2_b32 v[27:28], v50 offset0:83 offset1:208
	v_fma_f32 v68, v68, v101, -v20
	v_fmac_f32_e32 v51, v129, v101
	s_waitcnt vmcnt(6) lgkmcnt(2)
	v_mul_f32_e32 v21, v33, v108
	v_mul_f32_e32 v43, v66, v108
	ds_read2_b32 v[101:102], v83 offset0:65 offset1:190
	s_waitcnt vmcnt(5)
	v_mul_f32_e32 v39, v67, v112
	v_fmac_f32_e32 v49, v44, v103
	v_mul_f32_e32 v20, v130, v106
	v_fma_f32 v44, v66, v107, -v21
	v_mul_f32_e32 v21, v34, v112
	v_fmac_f32_e32 v43, v33, v107
	v_fmac_f32_e32 v39, v34, v111
	ds_read2_b32 v[33:34], v87 offset0:77 offset1:202
	v_fma_f32 v47, v69, v105, -v20
	v_mul_f32_e32 v20, v26, v110
	ds_read2_b32 v[103:104], v90 offset0:59 offset1:184
	v_mul_f32_e32 v37, v64, v110
	v_fma_f32 v40, v67, v111, -v21
	s_waitcnt vmcnt(4) lgkmcnt(4)
	v_mul_f32_e32 v45, v36, v116
	v_fma_f32 v41, v64, v109, -v20
	v_mul_f32_e32 v20, v62, v114
	v_mul_f32_e32 v21, v57, v116
	v_fmac_f32_e32 v37, v26, v109
	s_waitcnt lgkmcnt(3)
	v_mul_f32_e32 v26, v27, v114
	s_waitcnt vmcnt(3)
	v_mul_f32_e32 v53, v28, v118
	v_fmac_f32_e32 v20, v27, v113
	v_fma_f32 v27, v57, v115, -v45
	v_fmac_f32_e32 v21, v36, v115
	v_mul_f32_e32 v64, v63, v118
	s_waitcnt lgkmcnt(2)
	v_mul_f32_e32 v36, v101, v120
	s_waitcnt vmcnt(2)
	v_mul_f32_e32 v45, v102, v124
	v_mul_f32_e32 v42, v69, v106
	;; [unrolled: 1-line block ×3, first 2 shown]
	v_fma_f32 v67, v63, v117, -v53
	v_fmac_f32_e32 v64, v28, v117
	v_fma_f32 v69, v60, v119, -v36
	v_mul_f32_e32 v60, v61, v124
	v_fma_f32 v63, v61, v123, -v45
	s_waitcnt lgkmcnt(1)
	v_mul_f32_e32 v28, v33, v122
	v_mul_f32_e32 v61, v58, v122
	v_fma_f32 v26, v62, v113, -v26
	s_waitcnt vmcnt(1)
	v_mul_f32_e32 v55, v24, v128
	v_mul_f32_e32 v36, v34, v126
	v_fma_f32 v62, v58, v121, -v28
	v_fmac_f32_e32 v61, v33, v121
	s_waitcnt lgkmcnt(0)
	v_mul_f32_e32 v28, v103, v128
	s_waitcnt vmcnt(0)
	v_mul_f32_e32 v33, v35, v1
	v_mul_f32_e32 v1, v56, v1
	;; [unrolled: 1-line block ×3, first 2 shown]
	v_fma_f32 v57, v59, v125, -v36
	v_fma_f32 v58, v24, v127, -v28
	v_mul_f32_e32 v24, v104, v3
	v_fma_f32 v45, v56, v0, -v33
	v_fmac_f32_e32 v1, v35, v0
	v_add_f32_e32 v0, v22, v26
	v_mul_f32_e32 v3, v25, v3
	v_fma_f32 v56, v25, v2, -v24
	v_sub_f32_e32 v24, v19, v22
	v_add_f32_e32 v25, v99, v19
	v_fma_f32 v33, -0.5, v0, v99
	v_sub_f32_e32 v0, v27, v26
	v_mov_b32_e32 v28, 2
	v_mov_b32_e32 v35, 0x64
	v_add_f32_e32 v25, v25, v22
	v_fmac_f32_e32 v53, v34, v125
	v_add_f32_e32 v24, v24, v0
	v_lshlrev_b32_sdwa v0, v28, v31 dst_sel:DWORD dst_unused:UNUSED_PAD src0_sel:DWORD src1_sel:BYTE_0
	v_add_f32_e32 v31, v19, v27
	v_sub_f32_e32 v34, v12, v21
	v_sub_f32_e32 v59, v13, v20
	v_mul_u32_u24_sdwa v16, v16, v35 dst_sel:DWORD dst_unused:UNUSED_PAD src0_sel:WORD_0 src1_sel:DWORD
	v_add_f32_e32 v25, v25, v26
	v_fmac_f32_e32 v99, -0.5, v31
	v_fmamk_f32 v36, v34, 0x3f737871, v33
	v_fmac_f32_e32 v3, v104, v2
	v_add3_u32 v2, 0, v16, v0
	v_add_f32_e32 v16, v25, v27
	v_sub_f32_e32 v25, v22, v19
	v_sub_f32_e32 v31, v26, v27
	v_fmamk_f32 v71, v59, 0xbf737871, v99
	v_fmac_f32_e32 v99, 0x3f737871, v59
	v_fmac_f32_e32 v36, 0x3f167918, v59
	;; [unrolled: 1-line block ×3, first 2 shown]
	v_add_f32_e32 v25, v25, v31
	v_fmac_f32_e32 v71, 0x3f167918, v34
	v_fmac_f32_e32 v99, 0xbf167918, v34
	;; [unrolled: 1-line block ×4, first 2 shown]
	v_sub_f32_e32 v31, v69, v67
	v_fmac_f32_e32 v71, 0x3e9e377a, v25
	v_fmac_f32_e32 v99, 0x3e9e377a, v25
	v_sub_f32_e32 v25, v100, v70
	v_fmac_f32_e32 v66, v101, v119
	v_fmac_f32_e32 v60, v102, v123
	;; [unrolled: 1-line block ×3, first 2 shown]
	ds_read_b32 v101, v46
	ds_read_b32 v102, v92
	;; [unrolled: 1-line block ×5, first 2 shown]
	s_waitcnt lgkmcnt(0)
	s_barrier
	buffer_gl0_inv
	ds_write2_b32 v2, v16, v36 offset1:5
	ds_write2_b32 v2, v71, v99 offset0:10 offset1:15
	v_fmac_f32_e32 v33, 0x3e9e377a, v24
	v_add_f32_e32 v16, v25, v31
	v_add_f32_e32 v24, v70, v67
	v_mul_u32_u24_sdwa v18, v18, v35 dst_sel:DWORD dst_unused:UNUSED_PAD src0_sel:WORD_0 src1_sel:DWORD
	v_lshlrev_b32_sdwa v23, v28, v23 dst_sel:DWORD dst_unused:UNUSED_PAD src0_sel:DWORD src1_sel:BYTE_0
	v_add_f32_e32 v31, v100, v69
	v_add_f32_e32 v25, v98, v100
	v_fma_f32 v24, -0.5, v24, v98
	v_sub_f32_e32 v34, v72, v66
	v_add3_u32 v59, 0, v18, v23
	v_sub_f32_e32 v18, v73, v64
	v_fmac_f32_e32 v98, -0.5, v31
	v_sub_f32_e32 v31, v70, v100
	v_sub_f32_e32 v35, v67, v69
	v_add_f32_e32 v23, v25, v70
	v_fmamk_f32 v25, v34, 0x3f737871, v24
	v_fmamk_f32 v36, v18, 0xbf737871, v98
	v_fmac_f32_e32 v98, 0x3f737871, v18
	v_add_f32_e32 v31, v31, v35
	v_fmac_f32_e32 v24, 0xbf737871, v34
	v_add_f32_e32 v23, v23, v67
	v_fmac_f32_e32 v36, 0x3f167918, v34
	v_fmac_f32_e32 v98, 0xbf167918, v34
	v_fmac_f32_e32 v25, 0x3f167918, v18
	v_fmac_f32_e32 v24, 0xbf167918, v18
	v_sub_f32_e32 v18, v68, v65
	v_fmac_f32_e32 v36, 0x3e9e377a, v31
	v_fmac_f32_e32 v98, 0x3e9e377a, v31
	v_sub_f32_e32 v31, v63, v62
	v_add_f32_e32 v23, v23, v69
	v_fmac_f32_e32 v25, 0x3e9e377a, v16
	v_fmac_f32_e32 v24, 0x3e9e377a, v16
	ds_write_b32 v2, v33 offset:80
	ds_write2_b32 v59, v23, v25 offset1:5
	ds_write2_b32 v59, v36, v98 offset0:10 offset1:15
	v_add_f32_e32 v16, v18, v31
	v_add_f32_e32 v18, v65, v62
	v_lshlrev_b32_sdwa v17, v28, v17 dst_sel:DWORD dst_unused:UNUSED_PAD src0_sel:DWORD src1_sel:WORD_0
	v_add_f32_e32 v25, v68, v63
	v_add_f32_e32 v23, v97, v68
	v_sub_f32_e32 v31, v51, v60
	v_fma_f32 v18, -0.5, v18, v97
	v_add3_u32 v71, 0, v11, v17
	v_sub_f32_e32 v11, v49, v61
	v_fmac_f32_e32 v97, -0.5, v25
	v_add_f32_e32 v17, v23, v65
	v_fmamk_f32 v23, v31, 0x3f737871, v18
	v_sub_f32_e32 v25, v65, v68
	v_sub_f32_e32 v33, v62, v63
	v_fmamk_f32 v34, v11, 0xbf737871, v97
	v_fmac_f32_e32 v97, 0x3f737871, v11
	v_fmac_f32_e32 v18, 0xbf737871, v31
	v_add_f32_e32 v17, v17, v62
	v_fmac_f32_e32 v23, 0x3f167918, v11
	v_add_f32_e32 v25, v25, v33
	v_fmac_f32_e32 v34, 0x3f167918, v31
	v_fmac_f32_e32 v97, 0xbf167918, v31
	;; [unrolled: 1-line block ×3, first 2 shown]
	v_add_f32_e32 v17, v17, v63
	v_fmac_f32_e32 v23, 0x3e9e377a, v16
	v_fmac_f32_e32 v34, 0x3e9e377a, v25
	;; [unrolled: 1-line block ×5, first 2 shown]
	v_add_f32_e32 v16, v44, v57
	ds_write_b32 v59, v24 offset:80
	ds_write2_b32 v71, v17, v23 offset1:5
	ds_write2_b32 v71, v34, v97 offset0:10 offset1:15
	v_lshlrev_b32_sdwa v15, v28, v15 dst_sel:DWORD dst_unused:UNUSED_PAD src0_sel:DWORD src1_sel:WORD_0
	v_add_f32_e32 v23, v47, v58
	v_add_f32_e32 v17, v96, v47
	v_fma_f32 v16, -0.5, v16, v96
	v_sub_f32_e32 v24, v42, v55
	v_sub_f32_e32 v11, v47, v44
	;; [unrolled: 1-line block ×3, first 2 shown]
	v_add3_u32 v97, 0, v10, v15
	v_sub_f32_e32 v10, v43, v53
	v_fmac_f32_e32 v96, -0.5, v23
	v_add_f32_e32 v15, v17, v44
	v_fmamk_f32 v17, v24, 0x3f737871, v16
	v_fmac_f32_e32 v16, 0xbf737871, v24
	v_add_f32_e32 v11, v11, v25
	v_sub_f32_e32 v23, v44, v47
	v_sub_f32_e32 v25, v57, v58
	v_fmamk_f32 v31, v10, 0xbf737871, v96
	v_fmac_f32_e32 v96, 0x3f737871, v10
	v_add_f32_e32 v15, v15, v57
	v_fmac_f32_e32 v17, 0x3f167918, v10
	v_fmac_f32_e32 v16, 0xbf167918, v10
	v_add_f32_e32 v23, v23, v25
	v_fmac_f32_e32 v31, 0x3f167918, v24
	;; [unrolled: 3-line block ×4, first 2 shown]
	v_fmac_f32_e32 v96, 0x3e9e377a, v23
	ds_write_b32 v71, v18 offset:80
	ds_write2_b32 v97, v15, v17 offset1:5
	ds_write2_b32 v97, v31, v96 offset0:10 offset1:15
	ds_write_b32 v97, v16 offset:80
	v_lshlrev_b32_sdwa v9, v28, v9 dst_sel:DWORD dst_unused:UNUSED_PAD src0_sel:DWORD src1_sel:WORD_0
	v_fma_f32 v11, -0.5, v11, v14
	v_add_f32_e32 v16, v41, v56
	v_sub_f32_e32 v17, v37, v3
	v_sub_f32_e32 v10, v41, v40
	;; [unrolled: 1-line block ×3, first 2 shown]
	v_add_f32_e32 v15, v14, v41
	v_add3_u32 v96, 0, v8, v9
	v_sub_f32_e32 v8, v39, v1
	v_fmac_f32_e32 v14, -0.5, v16
	v_fmamk_f32 v9, v17, 0x3f737871, v11
	v_fmac_f32_e32 v11, 0xbf737871, v17
	v_add_f32_e32 v10, v10, v23
	v_add_f32_e32 v15, v15, v40
	v_fmamk_f32 v23, v8, 0xbf737871, v14
	v_fmac_f32_e32 v9, 0x3f167918, v8
	v_fmac_f32_e32 v14, 0x3f737871, v8
	;; [unrolled: 1-line block ×3, first 2 shown]
	v_add_f32_e32 v8, v101, v12
	v_sub_f32_e32 v16, v40, v41
	v_sub_f32_e32 v18, v45, v56
	v_fmac_f32_e32 v23, 0x3f167918, v17
	v_fmac_f32_e32 v14, 0xbf167918, v17
	v_add_f32_e32 v8, v8, v13
	v_add_f32_e32 v17, v13, v20
	;; [unrolled: 1-line block ×4, first 2 shown]
	v_sub_f32_e32 v98, v19, v27
	v_add_f32_e32 v8, v8, v20
	v_fma_f32 v99, -0.5, v17, v101
	v_add_f32_e32 v15, v15, v56
	v_fmac_f32_e32 v9, 0x3e9e377a, v10
	v_sub_f32_e32 v105, v22, v26
	v_add_f32_e32 v108, v8, v21
	v_add_f32_e32 v8, v12, v21
	v_fmac_f32_e32 v23, 0x3e9e377a, v16
	v_fmac_f32_e32 v14, 0x3e9e377a, v16
	;; [unrolled: 1-line block ×3, first 2 shown]
	v_sub_f32_e32 v17, v12, v13
	v_fmac_f32_e32 v101, -0.5, v8
	v_sub_f32_e32 v18, v21, v20
	v_fmamk_f32 v106, v98, 0xbf737871, v99
	ds_write2_b32 v96, v15, v9 offset1:5
	ds_write2_b32 v96, v23, v14 offset0:10 offset1:15
	ds_write_b32 v96, v11 offset:80
	v_sub_f32_e32 v8, v13, v12
	v_sub_f32_e32 v9, v20, v21
	v_fmamk_f32 v109, v105, 0x3f737871, v101
	v_fmac_f32_e32 v101, 0xbf737871, v105
	v_add_f32_e32 v107, v17, v18
	v_fmac_f32_e32 v106, 0xbf167918, v105
	v_add_f32_e32 v110, v8, v9
	v_fmac_f32_e32 v109, 0xbf167918, v98
	v_fmac_f32_e32 v101, 0x3f167918, v98
	;; [unrolled: 1-line block ×4, first 2 shown]
	v_add_f32_e32 v98, v73, v64
	v_fmac_f32_e32 v109, 0x3e9e377a, v110
	v_fmac_f32_e32 v101, 0x3e9e377a, v110
	s_waitcnt lgkmcnt(0)
	s_barrier
	buffer_gl0_inv
	ds_read_b32 v36, v46
	ds_read_b32 v35, v92
	;; [unrolled: 1-line block ×5, first 2 shown]
	ds_read2_b32 v[26:27], v48 offset0:113 offset1:238
	ds_read2_b32 v[18:19], v52 offset0:101 offset1:226
	;; [unrolled: 1-line block ×10, first 2 shown]
	s_waitcnt lgkmcnt(0)
	s_barrier
	buffer_gl0_inv
	ds_write2_b32 v2, v108, v106 offset1:5
	ds_write2_b32 v2, v109, v101 offset0:10 offset1:15
	v_add_f32_e32 v101, v102, v72
	v_sub_f32_e32 v69, v100, v69
	v_fma_f32 v98, -0.5, v98, v102
	v_sub_f32_e32 v67, v70, v67
	v_add_f32_e32 v70, v72, v66
	v_add_f32_e32 v101, v101, v73
	v_fmac_f32_e32 v99, 0x3f167918, v105
	v_sub_f32_e32 v100, v72, v73
	v_sub_f32_e32 v105, v66, v64
	v_fmamk_f32 v106, v69, 0xbf737871, v98
	v_add_f32_e32 v101, v101, v64
	v_fmac_f32_e32 v102, -0.5, v70
	v_fmac_f32_e32 v99, 0x3e9e377a, v107
	v_add_f32_e32 v100, v100, v105
	v_fmac_f32_e32 v106, 0xbf167918, v67
	v_add_f32_e32 v70, v101, v66
	v_sub_f32_e32 v72, v73, v72
	v_sub_f32_e32 v64, v64, v66
	v_fmamk_f32 v66, v67, 0x3f737871, v102
	v_fmac_f32_e32 v102, 0xbf737871, v67
	v_fmac_f32_e32 v106, 0x3e9e377a, v100
	;; [unrolled: 1-line block ×3, first 2 shown]
	v_add_f32_e32 v64, v72, v64
	v_fmac_f32_e32 v66, 0xbf167918, v69
	v_fmac_f32_e32 v102, 0x3f167918, v69
	ds_write_b32 v2, v99 offset:80
	ds_write2_b32 v59, v70, v106 offset1:5
	v_sub_f32_e32 v2, v68, v63
	v_add_f32_e32 v63, v49, v61
	v_add_f32_e32 v68, v51, v60
	v_fmac_f32_e32 v98, 0x3f167918, v67
	v_fmac_f32_e32 v66, 0x3e9e377a, v64
	;; [unrolled: 1-line block ×3, first 2 shown]
	v_sub_f32_e32 v64, v51, v49
	v_sub_f32_e32 v67, v60, v61
	v_add_f32_e32 v69, v103, v51
	v_fma_f32 v63, -0.5, v63, v103
	v_sub_f32_e32 v62, v65, v62
	v_fmac_f32_e32 v103, -0.5, v68
	v_add_f32_e32 v64, v64, v67
	v_add_f32_e32 v65, v69, v49
	v_fmamk_f32 v67, v2, 0xbf737871, v63
	v_sub_f32_e32 v49, v49, v51
	v_sub_f32_e32 v51, v61, v60
	v_fmamk_f32 v68, v62, 0x3f737871, v103
	v_fmac_f32_e32 v103, 0xbf737871, v62
	v_add_f32_e32 v61, v65, v61
	v_fmac_f32_e32 v67, 0xbf167918, v62
	v_add_f32_e32 v49, v49, v51
	v_fmac_f32_e32 v68, 0xbf167918, v2
	v_fmac_f32_e32 v103, 0x3f167918, v2
	;; [unrolled: 1-line block ×4, first 2 shown]
	v_add_f32_e32 v2, v61, v60
	v_fmac_f32_e32 v67, 0x3e9e377a, v64
	v_fmac_f32_e32 v68, 0x3e9e377a, v49
	v_fmac_f32_e32 v103, 0x3e9e377a, v49
	ds_write2_b32 v59, v66, v102 offset0:10 offset1:15
	ds_write_b32 v59, v98 offset:80
	ds_write2_b32 v71, v2, v67 offset1:5
	ds_write2_b32 v71, v68, v103 offset0:10 offset1:15
	v_sub_f32_e32 v2, v47, v58
	v_add_f32_e32 v47, v104, v42
	v_add_f32_e32 v49, v43, v53
	;; [unrolled: 1-line block ×3, first 2 shown]
	v_sub_f32_e32 v44, v44, v57
	v_sub_f32_e32 v51, v42, v43
	v_add_f32_e32 v47, v47, v43
	v_fma_f32 v49, -0.5, v49, v104
	v_fmac_f32_e32 v104, -0.5, v59
	v_sub_f32_e32 v58, v55, v53
	v_sub_f32_e32 v42, v43, v42
	v_add_f32_e32 v47, v47, v53
	v_fmamk_f32 v57, v2, 0xbf737871, v49
	v_sub_f32_e32 v43, v53, v55
	v_fmamk_f32 v53, v44, 0x3f737871, v104
	v_fmac_f32_e32 v104, 0xbf737871, v44
	v_fmac_f32_e32 v63, 0x3f167918, v62
	v_add_f32_e32 v51, v51, v58
	v_fmac_f32_e32 v57, 0xbf167918, v44
	v_add_f32_e32 v42, v42, v43
	v_fmac_f32_e32 v53, 0xbf167918, v2
	v_fmac_f32_e32 v104, 0x3f167918, v2
	;; [unrolled: 1-line block ×3, first 2 shown]
	v_add_f32_e32 v47, v47, v55
	v_fmac_f32_e32 v57, 0x3e9e377a, v51
	v_fmac_f32_e32 v53, 0x3e9e377a, v42
	;; [unrolled: 1-line block ×3, first 2 shown]
	v_add_f32_e32 v42, v0, v37
	v_fmac_f32_e32 v49, 0x3f737871, v2
	ds_write_b32 v71, v63 offset:80
	ds_write2_b32 v97, v47, v57 offset1:5
	v_add_f32_e32 v2, v39, v1
	v_add_f32_e32 v42, v42, v39
	;; [unrolled: 1-line block ×3, first 2 shown]
	v_fmac_f32_e32 v49, 0x3f167918, v44
	v_sub_f32_e32 v41, v41, v56
	v_fma_f32 v2, -0.5, v2, v0
	v_sub_f32_e32 v40, v40, v45
	v_add_f32_e32 v42, v42, v1
	v_fmac_f32_e32 v0, -0.5, v47
	v_fmac_f32_e32 v49, 0x3e9e377a, v51
	v_sub_f32_e32 v43, v37, v39
	v_sub_f32_e32 v44, v3, v1
	v_fmamk_f32 v45, v41, 0xbf737871, v2
	v_add_f32_e32 v42, v42, v3
	v_sub_f32_e32 v37, v39, v37
	v_sub_f32_e32 v1, v1, v3
	v_mul_lo_u16 v3, v32, 41
	v_fmamk_f32 v32, v40, 0x3f737871, v0
	v_fmac_f32_e32 v0, 0xbf737871, v40
	v_mov_b32_e32 v39, 0x47af
	v_fmac_f32_e32 v2, 0x3f737871, v41
	ds_write2_b32 v97, v53, v104 offset0:10 offset1:15
	ds_write_b32 v97, v49 offset:80
	v_add_f32_e32 v43, v43, v44
	v_fmac_f32_e32 v45, 0xbf167918, v40
	v_add_f32_e32 v1, v37, v1
	v_lshrrev_b16 v97, 10, v3
	v_fmac_f32_e32 v32, 0xbf167918, v41
	v_mul_u32_u24_sdwa v3, v76, v39 dst_sel:DWORD dst_unused:UNUSED_PAD src0_sel:WORD_0 src1_sel:DWORD
	v_fmac_f32_e32 v0, 0x3f167918, v41
	v_fmac_f32_e32 v2, 0x3f167918, v40
	;; [unrolled: 1-line block ×4, first 2 shown]
	v_lshrrev_b32_e32 v3, 16, v3
	v_fmac_f32_e32 v0, 0x3e9e377a, v1
	v_fmac_f32_e32 v2, 0x3e9e377a, v43
	ds_write2_b32 v96, v42, v45 offset1:5
	ds_write2_b32 v96, v32, v0 offset0:10 offset1:15
	ds_write_b32 v96, v2 offset:80
	v_sub_nc_u16 v1, v76, v3
	v_mul_u32_u24_sdwa v0, v77, v39 dst_sel:DWORD dst_unused:UNUSED_PAD src0_sel:WORD_0 src1_sel:DWORD
	v_mul_lo_u16 v2, v30, 41
	v_mul_lo_u16 v37, v97, 25
	s_waitcnt lgkmcnt(0)
	v_lshrrev_b16 v1, 1, v1
	v_lshrrev_b32_e32 v0, 16, v0
	v_lshrrev_b16 v99, 10, v2
	v_mul_u32_u24_sdwa v2, v78, v39 dst_sel:DWORD dst_unused:UNUSED_PAD src0_sel:WORD_0 src1_sel:DWORD
	v_sub_nc_u16 v100, v74, v37
	v_add_nc_u16 v1, v1, v3
	v_sub_nc_u16 v3, v77, v0
	v_mul_lo_u16 v30, v99, 25
	s_barrier
	v_lshlrev_b32_sdwa v37, v29, v100 dst_sel:DWORD dst_unused:UNUSED_PAD src0_sel:DWORD src1_sel:BYTE_0
	v_lshrrev_b16 v73, 4, v1
	v_lshrrev_b32_e32 v1, 16, v2
	v_lshrrev_b16 v2, 1, v3
	v_sub_nc_u16 v101, v75, v30
	buffer_gl0_inv
	v_mul_lo_u16 v3, v73, 25
	v_sub_nc_u16 v30, v78, v1
	v_add_nc_u16 v0, v2, v0
	global_load_dwordx4 v[39:42], v37, s[12:13] offset:160
	v_lshlrev_b32_sdwa v2, v29, v101 dst_sel:DWORD dst_unused:UNUSED_PAD src0_sel:DWORD src1_sel:BYTE_0
	v_sub_nc_u16 v98, v76, v3
	v_lshrrev_b16 v3, 1, v30
	v_lshrrev_b16 v69, 4, v0
	global_load_dwordx4 v[56:59], v2, s[12:13] offset:160
	v_lshlrev_b32_sdwa v0, v29, v98 dst_sel:DWORD dst_unused:UNUSED_PAD src0_sel:DWORD src1_sel:WORD_0
	v_add_nc_u16 v1, v3, v1
	v_mul_lo_u16 v3, v69, 25
	global_load_dwordx4 v[102:105], v0, s[12:13] offset:160
	v_lshrrev_b16 v30, 4, v1
	v_sub_nc_u16 v72, v77, v3
	v_mul_lo_u16 v1, v30, 25
	v_lshlrev_b32_sdwa v3, v29, v72 dst_sel:DWORD dst_unused:UNUSED_PAD src0_sel:DWORD src1_sel:WORD_0
	v_sub_nc_u16 v32, v78, v1
	global_load_dwordx4 v[106:109], v3, s[12:13] offset:160
	v_lshlrev_b32_sdwa v1, v29, v32 dst_sel:DWORD dst_unused:UNUSED_PAD src0_sel:DWORD src1_sel:WORD_0
	s_clause 0x5
	global_load_dwordx4 v[110:113], v1, s[12:13] offset:160
	global_load_dwordx4 v[114:117], v37, s[12:13] offset:176
	;; [unrolled: 1-line block ×6, first 2 shown]
	ds_read2_b32 v[43:44], v48 offset0:113 offset1:238
	ds_read2_b32 v[60:61], v52 offset0:101 offset1:226
	;; [unrolled: 1-line block ×5, first 2 shown]
	s_waitcnt vmcnt(9) lgkmcnt(4)
	v_mul_f32_e32 v37, v43, v40
	v_mul_f32_e32 v29, v26, v40
	s_waitcnt lgkmcnt(3)
	v_mul_f32_e32 v40, v61, v42
	v_mul_f32_e32 v66, v19, v42
	v_fma_f32 v26, v26, v39, -v37
	s_waitcnt vmcnt(8)
	v_mul_f32_e32 v37, v44, v57
	v_fma_f32 v96, v19, v41, -v40
	s_waitcnt lgkmcnt(2)
	v_mul_f32_e32 v19, v64, v59
	v_mul_f32_e32 v57, v27, v57
	;; [unrolled: 1-line block ×3, first 2 shown]
	v_fma_f32 v62, v27, v56, -v37
	s_waitcnt vmcnt(7)
	v_mul_f32_e32 v27, v65, v105
	v_mul_f32_e32 v47, v25, v105
	v_fma_f32 v63, v24, v58, -v19
	s_waitcnt lgkmcnt(1)
	v_mul_f32_e32 v19, v67, v103
	v_fmac_f32_e32 v57, v44, v56
	v_fma_f32 v51, v25, v104, -v27
	v_fmac_f32_e32 v47, v65, v104
	v_mul_f32_e32 v49, v22, v103
	ds_read2_b32 v[24:25], v50 offset0:83 offset1:208
	v_fma_f32 v56, v22, v102, -v19
	ds_read2_b32 v[103:104], v81 offset0:71 offset1:196
	v_fmac_f32_e32 v29, v43, v39
	s_waitcnt vmcnt(6)
	v_mul_f32_e32 v19, v68, v107
	s_waitcnt lgkmcnt(2)
	v_mul_f32_e32 v22, v70, v109
	v_mul_f32_e32 v42, v23, v107
	;; [unrolled: 1-line block ×3, first 2 shown]
	s_waitcnt vmcnt(5)
	v_mul_f32_e32 v37, v18, v111
	v_fma_f32 v45, v23, v106, -v19
	v_fma_f32 v44, v20, v108, -v22
	ds_read2_b32 v[22:23], v83 offset0:65 offset1:190
	v_fmac_f32_e32 v42, v68, v106
	v_mul_f32_e32 v19, v60, v111
	ds_read2_b32 v[105:106], v87 offset0:77 offset1:202
	v_mul_f32_e32 v20, v71, v113
	v_fmac_f32_e32 v43, v70, v108
	ds_read2_b32 v[107:108], v90 offset0:59 offset1:184
	v_fma_f32 v39, v18, v110, -v19
	s_waitcnt vmcnt(4)
	v_mul_f32_e32 v18, v16, v115
	v_fmac_f32_e32 v66, v61, v41
	v_mul_f32_e32 v40, v21, v113
	v_fma_f32 v41, v21, v112, -v20
	s_waitcnt lgkmcnt(4)
	v_mul_f32_e32 v20, v24, v115
	s_waitcnt lgkmcnt(3)
	v_mul_f32_e32 v21, v104, v117
	v_fmac_f32_e32 v18, v24, v114
	s_waitcnt vmcnt(3)
	v_mul_f32_e32 v24, v25, v119
	v_fmac_f32_e32 v49, v67, v102
	v_mul_f32_e32 v19, v11, v117
	v_fma_f32 v16, v16, v114, -v20
	v_fma_f32 v20, v11, v116, -v21
	v_mul_f32_e32 v67, v17, v119
	s_waitcnt lgkmcnt(2)
	v_mul_f32_e32 v11, v22, v121
	v_fma_f32 v70, v17, v118, -v24
	s_waitcnt vmcnt(2)
	v_mul_f32_e32 v17, v23, v125
	v_fmac_f32_e32 v59, v64, v58
	v_fmac_f32_e32 v40, v71, v112
	v_mul_f32_e32 v68, v14, v121
	v_fma_f32 v71, v14, v120, -v11
	v_mul_f32_e32 v58, v15, v125
	v_fma_f32 v65, v15, v124, -v17
	s_waitcnt lgkmcnt(1)
	v_mul_f32_e32 v14, v105, v123
	s_waitcnt vmcnt(1)
	v_mul_f32_e32 v15, v106, v127
	v_mul_f32_e32 v61, v12, v123
	v_mul_f32_e32 v11, v13, v127
	v_fmac_f32_e32 v37, v60, v110
	v_fma_f32 v64, v12, v122, -v14
	s_waitcnt lgkmcnt(0)
	v_mul_f32_e32 v12, v107, v129
	v_fma_f32 v55, v13, v126, -v15
	s_waitcnt vmcnt(0)
	v_mul_f32_e32 v13, v103, v1
	v_mul_f32_e32 v53, v8, v129
	v_mul_f32_e32 v1, v10, v1
	v_fma_f32 v60, v8, v128, -v12
	v_mul_f32_e32 v12, v108, v3
	v_fma_f32 v8, v10, v0, -v13
	v_add_f32_e32 v13, v96, v16
	v_mul_f32_e32 v3, v9, v3
	v_sub_f32_e32 v14, v20, v16
	v_fma_f32 v10, v9, v2, -v12
	v_fmac_f32_e32 v19, v104, v116
	v_fma_f32 v9, -0.5, v13, v36
	v_sub_f32_e32 v13, v26, v96
	v_mov_b32_e32 v15, 0x1f4
	v_fmac_f32_e32 v68, v22, v120
	v_fmac_f32_e32 v58, v23, v124
	;; [unrolled: 1-line block ×3, first 2 shown]
	v_add_f32_e32 v13, v13, v14
	v_add_f32_e32 v14, v26, v20
	;; [unrolled: 1-line block ×3, first 2 shown]
	v_sub_f32_e32 v12, v29, v19
	v_sub_f32_e32 v21, v66, v18
	v_lshlrev_b32_sdwa v22, v28, v100 dst_sel:DWORD dst_unused:UNUSED_PAD src0_sel:DWORD src1_sel:BYTE_0
	v_mul_u32_u24_sdwa v23, v97, v15 dst_sel:DWORD dst_unused:UNUSED_PAD src0_sel:WORD_0 src1_sel:DWORD
	v_fmac_f32_e32 v36, -0.5, v14
	v_add_f32_e32 v0, v0, v96
	v_fmamk_f32 v17, v12, 0x3f737871, v9
	v_fmac_f32_e32 v3, v108, v2
	v_add3_u32 v97, 0, v23, v22
	v_sub_f32_e32 v2, v96, v26
	v_sub_f32_e32 v14, v16, v20
	v_fmamk_f32 v22, v21, 0xbf737871, v36
	v_fmac_f32_e32 v36, 0x3f737871, v21
	v_add_f32_e32 v0, v0, v16
	v_fmac_f32_e32 v17, 0x3f167918, v21
	v_add_f32_e32 v2, v2, v14
	v_fmac_f32_e32 v22, 0x3f167918, v12
	v_fmac_f32_e32 v36, 0xbf167918, v12
	v_add_f32_e32 v23, v0, v20
	v_fmac_f32_e32 v17, 0x3e9e377a, v13
	v_fmac_f32_e32 v9, 0xbf737871, v12
	;; [unrolled: 1-line block ×4, first 2 shown]
	v_add_f32_e32 v2, v63, v70
	v_fmac_f32_e32 v67, v25, v118
	ds_read_b32 v100, v46
	ds_read_b32 v102, v92
	;; [unrolled: 1-line block ×5, first 2 shown]
	s_waitcnt lgkmcnt(0)
	s_barrier
	v_fmac_f32_e32 v9, 0xbf167918, v21
	buffer_gl0_inv
	ds_write2_b32 v97, v23, v17 offset1:25
	ds_write2_b32 v97, v22, v36 offset0:50 offset1:75
	v_add_f32_e32 v14, v35, v62
	v_fma_f32 v2, -0.5, v2, v35
	v_sub_f32_e32 v17, v57, v68
	v_add_f32_e32 v23, v62, v71
	v_fmac_f32_e32 v9, 0x3e9e377a, v13
	v_sub_f32_e32 v12, v62, v63
	v_sub_f32_e32 v13, v71, v70
	v_lshlrev_b32_sdwa v21, v28, v101 dst_sel:DWORD dst_unused:UNUSED_PAD src0_sel:DWORD src1_sel:BYTE_0
	v_mul_u32_u24_sdwa v22, v99, v15 dst_sel:DWORD dst_unused:UNUSED_PAD src0_sel:WORD_0 src1_sel:DWORD
	v_add_f32_e32 v14, v14, v63
	v_fmamk_f32 v24, v17, 0x3f737871, v2
	v_sub_f32_e32 v25, v59, v67
	v_fmac_f32_e32 v35, -0.5, v23
	v_add_f32_e32 v12, v12, v13
	v_add3_u32 v99, 0, v22, v21
	v_add_f32_e32 v13, v14, v70
	v_fmac_f32_e32 v24, 0x3f167918, v25
	v_sub_f32_e32 v14, v63, v62
	v_sub_f32_e32 v21, v70, v71
	v_fmamk_f32 v22, v25, 0xbf737871, v35
	v_fmac_f32_e32 v35, 0x3f737871, v25
	v_add_f32_e32 v13, v13, v71
	v_fmac_f32_e32 v24, 0x3e9e377a, v12
	v_add_f32_e32 v14, v14, v21
	v_fmac_f32_e32 v22, 0x3f167918, v17
	v_fmac_f32_e32 v35, 0xbf167918, v17
	ds_write_b32 v97, v9 offset:400
	v_fmac_f32_e32 v2, 0xbf737871, v17
	v_add_f32_e32 v9, v51, v64
	v_fmac_f32_e32 v61, v105, v122
	ds_write2_b32 v99, v13, v24 offset1:25
	v_fmac_f32_e32 v22, 0x3e9e377a, v14
	v_fmac_f32_e32 v35, 0x3e9e377a, v14
	;; [unrolled: 1-line block ×3, first 2 shown]
	v_sub_f32_e32 v13, v56, v51
	v_sub_f32_e32 v14, v65, v64
	v_add_f32_e32 v17, v34, v56
	v_fma_f32 v9, -0.5, v9, v34
	v_sub_f32_e32 v21, v49, v58
	v_fmac_f32_e32 v2, 0x3e9e377a, v12
	v_add_f32_e32 v12, v13, v14
	v_add_f32_e32 v13, v17, v51
	v_sub_f32_e32 v17, v47, v61
	v_fmamk_f32 v14, v21, 0x3f737871, v9
	v_add_f32_e32 v24, v56, v65
	ds_write2_b32 v99, v22, v35 offset0:50 offset1:75
	v_lshlrev_b32_sdwa v22, v28, v98 dst_sel:DWORD dst_unused:UNUSED_PAD src0_sel:DWORD src1_sel:WORD_0
	v_mul_u32_u24_sdwa v23, v73, v15 dst_sel:DWORD dst_unused:UNUSED_PAD src0_sel:WORD_0 src1_sel:DWORD
	v_add_f32_e32 v13, v13, v64
	v_fmac_f32_e32 v14, 0x3f167918, v17
	v_fmac_f32_e32 v34, -0.5, v24
	ds_write_b32 v99, v2 offset:400
	v_add3_u32 v73, 0, v23, v22
	v_add_f32_e32 v2, v13, v65
	v_fmac_f32_e32 v14, 0x3e9e377a, v12
	v_sub_f32_e32 v13, v51, v56
	v_sub_f32_e32 v22, v64, v65
	v_fmamk_f32 v23, v17, 0xbf737871, v34
	v_fmac_f32_e32 v34, 0x3f737871, v17
	v_fmac_f32_e32 v9, 0xbf737871, v21
	ds_write2_b32 v73, v2, v14 offset1:25
	v_add_f32_e32 v2, v13, v22
	v_fmac_f32_e32 v23, 0x3f167918, v21
	v_fmac_f32_e32 v34, 0xbf167918, v21
	;; [unrolled: 1-line block ×4, first 2 shown]
	v_sub_f32_e32 v13, v45, v44
	v_sub_f32_e32 v14, v60, v55
	v_fmac_f32_e32 v23, 0x3e9e377a, v2
	v_fmac_f32_e32 v34, 0x3e9e377a, v2
	v_add_f32_e32 v2, v44, v55
	v_fmac_f32_e32 v11, v106, v126
	v_fmac_f32_e32 v9, 0x3e9e377a, v12
	v_add_f32_e32 v12, v13, v14
	v_add_f32_e32 v14, v33, v45
	;; [unrolled: 1-line block ×3, first 2 shown]
	v_fma_f32 v2, -0.5, v2, v33
	v_sub_f32_e32 v21, v42, v53
	v_sub_f32_e32 v24, v43, v11
	v_add_f32_e32 v14, v14, v44
	v_fmac_f32_e32 v33, -0.5, v17
	v_lshlrev_b32_sdwa v13, v28, v72 dst_sel:DWORD dst_unused:UNUSED_PAD src0_sel:DWORD src1_sel:WORD_0
	v_fmamk_f32 v17, v21, 0x3f737871, v2
	v_fmac_f32_e32 v2, 0xbf737871, v21
	v_mul_u32_u24_sdwa v22, v69, v15 dst_sel:DWORD dst_unused:UNUSED_PAD src0_sel:WORD_0 src1_sel:DWORD
	v_add_f32_e32 v14, v14, v55
	v_fmamk_f32 v35, v24, 0xbf737871, v33
	v_fmac_f32_e32 v17, 0x3f167918, v24
	v_fmac_f32_e32 v2, 0xbf167918, v24
	v_add3_u32 v69, 0, v22, v13
	v_add_f32_e32 v13, v14, v60
	v_fmac_f32_e32 v33, 0x3f737871, v24
	v_fmac_f32_e32 v17, 0x3e9e377a, v12
	ds_write2_b32 v73, v23, v34 offset0:50 offset1:75
	ds_write_b32 v73, v9 offset:400
	ds_write2_b32 v69, v13, v17 offset1:25
	v_sub_f32_e32 v9, v39, v41
	v_sub_f32_e32 v13, v10, v8
	v_fmac_f32_e32 v2, 0x3e9e377a, v12
	v_add_f32_e32 v12, v41, v8
	v_lshlrev_b32_sdwa v14, v28, v32 dst_sel:DWORD dst_unused:UNUSED_PAD src0_sel:DWORD src1_sel:WORD_0
	v_mul_u32_u24_sdwa v15, v30, v15 dst_sel:DWORD dst_unused:UNUSED_PAD src0_sel:WORD_0 src1_sel:DWORD
	v_add_f32_e32 v17, v39, v10
	v_fmac_f32_e32 v35, 0x3f167918, v21
	v_fmac_f32_e32 v33, 0xbf167918, v21
	v_add_f32_e32 v9, v9, v13
	v_add_f32_e32 v13, v31, v39
	v_fma_f32 v12, -0.5, v12, v31
	v_sub_f32_e32 v21, v37, v3
	ds_write_b32 v69, v2 offset:400
	v_add3_u32 v2, 0, v15, v14
	v_sub_f32_e32 v14, v40, v1
	v_fmac_f32_e32 v31, -0.5, v17
	v_sub_f32_e32 v25, v44, v45
	v_sub_f32_e32 v27, v55, v60
	v_add_f32_e32 v13, v13, v41
	v_fmamk_f32 v15, v21, 0x3f737871, v12
	v_sub_f32_e32 v17, v41, v39
	v_sub_f32_e32 v22, v8, v10
	v_fmamk_f32 v23, v14, 0xbf737871, v31
	v_fmac_f32_e32 v31, 0x3f737871, v14
	v_fmac_f32_e32 v12, 0xbf737871, v21
	v_add_f32_e32 v25, v25, v27
	v_add_f32_e32 v13, v13, v8
	v_fmac_f32_e32 v15, 0x3f167918, v14
	v_add_f32_e32 v17, v17, v22
	v_fmac_f32_e32 v23, 0x3f167918, v21
	v_fmac_f32_e32 v31, 0xbf167918, v21
	;; [unrolled: 1-line block ×5, first 2 shown]
	v_add_f32_e32 v13, v13, v10
	v_fmac_f32_e32 v15, 0x3e9e377a, v9
	v_fmac_f32_e32 v23, 0x3e9e377a, v17
	;; [unrolled: 1-line block ×4, first 2 shown]
	v_add_f32_e32 v21, v66, v18
	ds_write2_b32 v69, v35, v33 offset0:50 offset1:75
	ds_write2_b32 v2, v13, v15 offset1:25
	ds_write2_b32 v2, v23, v31 offset0:50 offset1:75
	ds_write_b32 v2, v12 offset:400
	v_add_f32_e32 v12, v29, v19
	v_sub_f32_e32 v72, v26, v20
	v_add_f32_e32 v14, v100, v29
	v_fma_f32 v98, -0.5, v21, v100
	v_sub_f32_e32 v96, v96, v16
	v_fmac_f32_e32 v100, -0.5, v12
	v_sub_f32_e32 v16, v29, v66
	v_sub_f32_e32 v20, v19, v18
	v_add_f32_e32 v14, v14, v66
	v_fmamk_f32 v101, v72, 0xbf737871, v98
	v_sub_f32_e32 v12, v66, v29
	v_sub_f32_e32 v13, v18, v19
	v_fmamk_f32 v66, v96, 0x3f737871, v100
	v_fmac_f32_e32 v100, 0xbf737871, v96
	v_add_f32_e32 v9, v16, v20
	v_add_f32_e32 v14, v14, v18
	v_fmac_f32_e32 v101, 0xbf167918, v96
	v_add_f32_e32 v12, v12, v13
	v_fmac_f32_e32 v66, 0xbf167918, v72
	v_fmac_f32_e32 v100, 0x3f167918, v72
	v_add_f32_e32 v105, v14, v19
	v_fmac_f32_e32 v101, 0x3e9e377a, v9
	s_waitcnt lgkmcnt(0)
	v_fmac_f32_e32 v66, 0x3e9e377a, v12
	v_fmac_f32_e32 v100, 0x3e9e377a, v12
	s_barrier
	buffer_gl0_inv
	ds_read_b32 v36, v46
	ds_read_b32 v35, v92
	;; [unrolled: 1-line block ×5, first 2 shown]
	ds_read2_b32 v[30:31], v48 offset0:113 offset1:238
	ds_read2_b32 v[22:23], v52 offset0:101 offset1:226
	;; [unrolled: 1-line block ×9, first 2 shown]
	v_fmac_f32_e32 v98, 0x3f737871, v72
	ds_read2_b32 v[12:13], v90 offset0:59 offset1:184
	s_waitcnt lgkmcnt(0)
	s_barrier
	buffer_gl0_inv
	ds_write2_b32 v97, v105, v101 offset1:25
	ds_write2_b32 v97, v66, v100 offset0:50 offset1:75
	v_add_f32_e32 v66, v59, v67
	v_add_f32_e32 v72, v102, v57
	v_fmac_f32_e32 v98, 0x3f167918, v96
	v_sub_f32_e32 v62, v62, v71
	v_add_f32_e32 v96, v57, v68
	v_fma_f32 v66, -0.5, v66, v102
	v_sub_f32_e32 v63, v63, v70
	v_add_f32_e32 v70, v72, v59
	v_sub_f32_e32 v71, v57, v59
	v_sub_f32_e32 v72, v68, v67
	v_fmamk_f32 v100, v62, 0xbf737871, v66
	v_fmac_f32_e32 v102, -0.5, v96
	v_fmac_f32_e32 v66, 0x3f737871, v62
	v_add_f32_e32 v70, v70, v67
	v_fmac_f32_e32 v98, 0x3e9e377a, v9
	v_add_f32_e32 v9, v71, v72
	v_fmac_f32_e32 v100, 0xbf167918, v63
	v_sub_f32_e32 v57, v59, v57
	v_sub_f32_e32 v59, v67, v68
	v_fmamk_f32 v67, v63, 0x3f737871, v102
	v_fmac_f32_e32 v102, 0xbf737871, v63
	v_fmac_f32_e32 v66, 0x3f167918, v63
	;; [unrolled: 1-line block ×3, first 2 shown]
	v_add_f32_e32 v57, v57, v59
	v_fmac_f32_e32 v67, 0xbf167918, v62
	v_fmac_f32_e32 v102, 0x3f167918, v62
	;; [unrolled: 1-line block ×3, first 2 shown]
	v_sub_f32_e32 v9, v56, v65
	v_add_f32_e32 v56, v47, v61
	v_add_f32_e32 v62, v49, v58
	v_fmac_f32_e32 v67, 0x3e9e377a, v57
	v_fmac_f32_e32 v102, 0x3e9e377a, v57
	v_sub_f32_e32 v57, v49, v47
	v_sub_f32_e32 v59, v58, v61
	v_add_f32_e32 v63, v103, v49
	v_fma_f32 v56, -0.5, v56, v103
	v_sub_f32_e32 v51, v51, v64
	v_fmac_f32_e32 v103, -0.5, v62
	v_add_f32_e32 v57, v57, v59
	v_add_f32_e32 v59, v63, v47
	v_fmamk_f32 v62, v9, 0xbf737871, v56
	v_sub_f32_e32 v47, v47, v49
	v_sub_f32_e32 v49, v61, v58
	v_fmamk_f32 v63, v51, 0x3f737871, v103
	v_fmac_f32_e32 v103, 0xbf737871, v51
	v_add_f32_e32 v59, v59, v61
	v_fmac_f32_e32 v62, 0xbf167918, v51
	v_add_f32_e32 v47, v47, v49
	v_fmac_f32_e32 v63, 0xbf167918, v9
	v_fmac_f32_e32 v103, 0x3f167918, v9
	;; [unrolled: 1-line block ×3, first 2 shown]
	v_add_f32_e32 v70, v70, v68
	v_add_f32_e32 v9, v59, v58
	v_fmac_f32_e32 v62, 0x3e9e377a, v57
	v_fmac_f32_e32 v63, 0x3e9e377a, v47
	;; [unrolled: 1-line block ×3, first 2 shown]
	ds_write_b32 v97, v98 offset:400
	ds_write2_b32 v99, v70, v100 offset1:25
	v_fmac_f32_e32 v56, 0x3f167918, v51
	ds_write2_b32 v99, v67, v102 offset0:50 offset1:75
	ds_write_b32 v99, v66 offset:400
	ds_write2_b32 v73, v9, v62 offset1:25
	ds_write2_b32 v73, v63, v103 offset0:50 offset1:75
	v_sub_f32_e32 v9, v45, v60
	v_add_f32_e32 v45, v43, v11
	v_add_f32_e32 v51, v42, v53
	v_fmac_f32_e32 v56, 0x3e9e377a, v57
	v_sub_f32_e32 v47, v42, v43
	v_sub_f32_e32 v49, v53, v11
	v_add_f32_e32 v57, v104, v42
	v_fma_f32 v45, -0.5, v45, v104
	v_sub_f32_e32 v44, v44, v55
	v_fmac_f32_e32 v104, -0.5, v51
	v_add_f32_e32 v47, v47, v49
	v_add_f32_e32 v49, v57, v43
	v_fmamk_f32 v51, v9, 0xbf737871, v45
	v_sub_f32_e32 v42, v43, v42
	v_sub_f32_e32 v43, v11, v53
	v_fmamk_f32 v55, v44, 0x3f737871, v104
	v_fmac_f32_e32 v104, 0xbf737871, v44
	v_add_f32_e32 v11, v49, v11
	v_fmac_f32_e32 v51, 0xbf167918, v44
	v_add_f32_e32 v42, v42, v43
	v_fmac_f32_e32 v55, 0xbf167918, v9
	v_fmac_f32_e32 v104, 0x3f167918, v9
	v_fmac_f32_e32 v45, 0x3f737871, v9
	v_add_f32_e32 v9, v0, v37
	v_add_f32_e32 v11, v11, v53
	v_fmac_f32_e32 v51, 0x3e9e377a, v47
	v_fmac_f32_e32 v55, 0x3e9e377a, v42
	;; [unrolled: 1-line block ×3, first 2 shown]
	ds_write_b32 v73, v56 offset:400
	ds_write2_b32 v69, v11, v51 offset1:25
	v_add_f32_e32 v11, v40, v1
	v_add_f32_e32 v42, v37, v3
	;; [unrolled: 1-line block ×3, first 2 shown]
	v_sub_f32_e32 v41, v41, v8
	v_sub_f32_e32 v8, v37, v40
	v_fma_f32 v43, -0.5, v11, v0
	v_fmac_f32_e32 v0, -0.5, v42
	v_add_f32_e32 v9, v9, v1
	v_mov_b32_e32 v42, 0x625
	v_sub_f32_e32 v11, v3, v1
	v_sub_f32_e32 v37, v40, v37
	v_sub_f32_e32 v10, v39, v10
	v_sub_f32_e32 v1, v1, v3
	v_add_f32_e32 v3, v9, v3
	v_mul_u32_u24_sdwa v9, v76, v42 dst_sel:DWORD dst_unused:UNUSED_PAD src0_sel:WORD_0 src1_sel:DWORD
	v_fmac_f32_e32 v45, 0x3f167918, v44
	v_fmamk_f32 v40, v41, 0x3f737871, v0
	v_fmamk_f32 v44, v10, 0xbf737871, v43
	v_fmac_f32_e32 v0, 0xbf737871, v41
	v_add_f32_e32 v1, v37, v1
	v_fmac_f32_e32 v43, 0x3f737871, v10
	v_lshrrev_b32_e32 v37, 16, v9
	v_add_f32_e32 v39, v8, v11
	v_fmac_f32_e32 v40, 0xbf167918, v10
	v_fmac_f32_e32 v44, 0xbf167918, v41
	;; [unrolled: 1-line block ×4, first 2 shown]
	v_sub_nc_u16 v41, v76, v37
	v_fmac_f32_e32 v45, 0x3e9e377a, v47
	v_lshlrev_b32_e32 v8, 2, v74
	v_mov_b32_e32 v9, 0
	v_mul_u32_u24_sdwa v47, v77, v42 dst_sel:DWORD dst_unused:UNUSED_PAD src0_sel:WORD_0 src1_sel:DWORD
	v_fmac_f32_e32 v44, 0x3e9e377a, v39
	v_fmac_f32_e32 v40, 0x3e9e377a, v1
	;; [unrolled: 1-line block ×3, first 2 shown]
	v_lshrrev_b16 v1, 1, v41
	v_lshlrev_b64 v[10:11], 3, v[8:9]
	v_lshrrev_b32_e32 v8, 16, v47
	ds_write2_b32 v69, v55, v104 offset0:50 offset1:75
	ds_write_b32 v69, v45 offset:400
	ds_write2_b32 v2, v3, v44 offset1:25
	ds_write2_b32 v2, v40, v0 offset0:50 offset1:75
	v_add_nc_u16 v0, v1, v37
	v_mul_u32_u24_sdwa v3, v78, v42 dst_sel:DWORD dst_unused:UNUSED_PAD src0_sel:WORD_0 src1_sel:DWORD
	v_sub_nc_u16 v1, v77, v8
	v_fmac_f32_e32 v43, 0x3e9e377a, v39
	v_add_co_u32 v10, s0, s12, v10
	v_lshrrev_b16 v0, 6, v0
	v_lshrrev_b32_e32 v3, 16, v3
	v_lshrrev_b16 v1, 1, v1
	ds_write_b32 v2, v43 offset:400
	v_add_co_ci_u32_e64 v11, s0, s13, v11, s0
	v_mul_lo_u16 v0, 0x7d, v0
	v_sub_nc_u16 v2, v78, v3
	v_add_nc_u16 v1, v1, v8
	s_waitcnt lgkmcnt(0)
	s_barrier
	v_sub_nc_u16 v0, v76, v0
	v_lshrrev_b16 v2, 1, v2
	v_lshrrev_b16 v1, 6, v1
	buffer_gl0_inv
	global_load_dwordx4 v[39:42], v[10:11], off offset:960
	v_and_b32_e32 v99, 0xffff, v0
	v_add_nc_u16 v0, v2, v3
	v_mul_lo_u16 v1, 0x7d, v1
	v_lshlrev_b32_e32 v2, 5, v99
	v_lshrrev_b16 v0, 6, v0
	v_sub_nc_u16 v1, v77, v1
	v_lshl_add_u32 v99, v99, 2, 0
	global_load_dwordx4 v[69:72], v2, s[12:13] offset:960
	v_mul_lo_u16 v0, 0x7d, v0
	v_and_b32_e32 v96, 0xffff, v1
	v_sub_nc_u16 v0, v78, v0
	v_lshlrev_b32_e32 v1, 5, v96
	v_lshl_add_u32 v96, v96, 2, 0
	v_and_b32_e32 v68, 0xffff, v0
	global_load_dwordx4 v[100:103], v1, s[12:13] offset:960
	v_lshlrev_b32_e32 v0, 5, v68
	s_clause 0x4
	global_load_dwordx4 v[104:107], v0, s[12:13] offset:960
	global_load_dwordx4 v[108:111], v[10:11], off offset:976
	global_load_dwordx4 v[112:115], v2, s[12:13] offset:976
	global_load_dwordx4 v[116:119], v1, s[12:13] offset:976
	;; [unrolled: 1-line block ×3, first 2 shown]
	ds_read2_b32 v[43:44], v48 offset0:113 offset1:238
	ds_read2_b32 v[55:56], v52 offset0:101 offset1:226
	;; [unrolled: 1-line block ×6, first 2 shown]
	v_lshl_add_u32 v68, v68, 2, 0
	s_waitcnt vmcnt(7) lgkmcnt(5)
	v_mul_f32_e32 v8, v43, v40
	v_mul_f32_e32 v37, v44, v40
	;; [unrolled: 1-line block ×5, first 2 shown]
	v_fma_f32 v98, v30, v39, -v8
	s_waitcnt lgkmcnt(4)
	v_mul_f32_e32 v8, v56, v42
	s_waitcnt lgkmcnt(3)
	v_mul_f32_e32 v30, v61, v42
	v_fma_f32 v60, v31, v39, -v37
	v_mul_f32_e32 v64, v28, v42
	v_fmac_f32_e32 v58, v44, v39
	s_waitcnt vmcnt(6)
	v_mul_f32_e32 v31, v62, v72
	v_fma_f32 v23, v23, v41, -v8
	v_fma_f32 v67, v28, v41, -v30
	s_waitcnt lgkmcnt(2)
	v_mul_f32_e32 v8, v120, v70
	v_mul_f32_e32 v44, v26, v70
	v_fmac_f32_e32 v66, v43, v39
	v_fmac_f32_e32 v45, v56, v41
	v_fma_f32 v53, v29, v71, -v31
	v_mul_f32_e32 v43, v29, v72
	v_fma_f32 v56, v26, v69, -v8
	v_fmac_f32_e32 v44, v120, v69
	ds_read2_b32 v[69:70], v83 offset0:65 offset1:190
	s_waitcnt vmcnt(5)
	v_mul_f32_e32 v28, v121, v101
	v_mul_f32_e32 v31, v27, v101
	;; [unrolled: 1-line block ×3, first 2 shown]
	v_fmac_f32_e32 v43, v62, v71
	v_fmac_f32_e32 v64, v61, v41
	v_fma_f32 v40, v27, v100, -v28
	s_waitcnt vmcnt(4)
	v_mul_f32_e32 v29, v55, v105
	ds_read2_b32 v[26:27], v81 offset0:71 offset1:196
	v_fmac_f32_e32 v31, v121, v100
	v_mul_f32_e32 v8, v22, v105
	ds_read2_b32 v[100:101], v87 offset0:77 offset1:202
	v_fma_f32 v30, v22, v104, -v29
	s_waitcnt lgkmcnt(4)
	v_mul_f32_e32 v22, v123, v107
	s_waitcnt vmcnt(3) lgkmcnt(3)
	v_mul_f32_e32 v29, v125, v109
	v_mul_f32_e32 v28, v122, v103
	;; [unrolled: 1-line block ×4, first 2 shown]
	v_fma_f32 v37, v25, v106, -v22
	v_fma_f32 v73, v21, v108, -v29
	ds_read2_b32 v[21:22], v90 offset0:59 offset1:184
	v_fma_f32 v42, v24, v102, -v28
	v_mul_f32_e32 v24, v124, v109
	v_mul_f32_e32 v28, v25, v107
	s_waitcnt lgkmcnt(3)
	v_mul_f32_e32 v25, v69, v111
	v_mul_f32_e32 v61, v15, v111
	;; [unrolled: 1-line block ×3, first 2 shown]
	v_fma_f32 v20, v20, v108, -v24
	s_waitcnt lgkmcnt(2)
	v_mul_f32_e32 v24, v27, v111
	v_fma_f32 v97, v18, v110, -v25
	s_waitcnt vmcnt(2)
	v_mul_f32_e32 v63, v19, v115
	s_waitcnt lgkmcnt(1)
	v_mul_f32_e32 v18, v100, v113
	v_fmac_f32_e32 v71, v69, v110
	v_fma_f32 v15, v15, v110, -v24
	v_mul_f32_e32 v24, v70, v115
	v_mul_f32_e32 v65, v16, v113
	v_fmac_f32_e32 v63, v70, v114
	v_fma_f32 v70, v16, v112, -v18
	v_fmac_f32_e32 v62, v124, v108
	v_fma_f32 v69, v19, v114, -v24
	s_waitcnt vmcnt(1)
	v_mul_f32_e32 v19, v101, v117
	s_waitcnt lgkmcnt(0)
	v_mul_f32_e32 v16, v21, v119
	v_fmac_f32_e32 v61, v27, v110
	v_mul_f32_e32 v49, v17, v117
	v_mul_f32_e32 v51, v12, v119
	v_fma_f32 v57, v17, v116, -v19
	s_waitcnt vmcnt(0)
	v_mul_f32_e32 v17, v26, v1
	v_fma_f32 v59, v12, v118, -v16
	v_add_f32_e32 v12, v23, v20
	v_mul_f32_e32 v19, v22, v3
	v_mul_f32_e32 v47, v13, v3
	v_add_f32_e32 v3, v98, v15
	v_fmac_f32_e32 v8, v55, v104
	v_mul_f32_e32 v41, v14, v1
	v_fma_f32 v55, v14, v0, -v17
	v_add_f32_e32 v1, v36, v98
	v_fma_f32 v12, -0.5, v12, v36
	v_sub_f32_e32 v14, v66, v61
	v_sub_f32_e32 v18, v45, v62
	v_fmac_f32_e32 v36, -0.5, v3
	v_fmac_f32_e32 v49, v101, v116
	v_fmac_f32_e32 v41, v26, v0
	v_sub_f32_e32 v0, v98, v23
	v_sub_f32_e32 v16, v15, v20
	v_add_f32_e32 v1, v1, v23
	v_fmamk_f32 v17, v14, 0x3f737871, v12
	v_fma_f32 v101, v13, v2, -v19
	v_fmac_f32_e32 v47, v22, v2
	v_sub_f32_e32 v2, v23, v98
	v_sub_f32_e32 v3, v20, v15
	v_fmamk_f32 v13, v18, 0xbf737871, v36
	v_fmac_f32_e32 v36, 0x3f737871, v18
	v_add_f32_e32 v0, v0, v16
	v_add_f32_e32 v1, v1, v20
	v_fmac_f32_e32 v17, 0x3f167918, v18
	v_add_f32_e32 v2, v2, v3
	v_fmac_f32_e32 v13, 0x3f167918, v14
	v_fmac_f32_e32 v36, 0xbf167918, v14
	v_add_f32_e32 v3, v35, v60
	v_fmac_f32_e32 v12, 0xbf737871, v14
	v_add_f32_e32 v1, v1, v15
	v_fmac_f32_e32 v17, 0x3e9e377a, v0
	v_fmac_f32_e32 v13, 0x3e9e377a, v2
	;; [unrolled: 1-line block ×3, first 2 shown]
	v_add_f32_e32 v2, v3, v67
	v_fmac_f32_e32 v12, 0xbf167918, v18
	v_fmac_f32_e32 v39, v122, v102
	;; [unrolled: 1-line block ×4, first 2 shown]
	ds_read_b32 v102, v46
	ds_read_b32 v103, v92
	;; [unrolled: 1-line block ×5, first 2 shown]
	s_waitcnt lgkmcnt(0)
	s_barrier
	buffer_gl0_inv
	ds_write2_b32 v46, v1, v17 offset1:125
	v_add_f32_e32 v1, v2, v73
	v_fmac_f32_e32 v12, 0x3e9e377a, v0
	v_add_f32_e32 v0, v67, v73
	v_add_f32_e32 v2, v60, v97
	v_fmac_f32_e32 v28, v123, v106
	v_add_nc_u32_e32 v106, 0x200, v46
	v_sub_f32_e32 v16, v64, v72
	v_fma_f32 v0, -0.5, v0, v35
	v_fmac_f32_e32 v35, -0.5, v2
	v_sub_f32_e32 v3, v60, v67
	ds_write2_b32 v106, v13, v36 offset0:122 offset1:247
	v_sub_f32_e32 v13, v97, v73
	v_sub_f32_e32 v2, v67, v60
	;; [unrolled: 1-line block ×4, first 2 shown]
	v_fmamk_f32 v18, v16, 0xbf737871, v35
	v_fmac_f32_e32 v35, 0x3f737871, v16
	v_add_f32_e32 v3, v3, v13
	v_fmamk_f32 v13, v14, 0x3f737871, v0
	v_add_f32_e32 v2, v2, v17
	v_fmac_f32_e32 v0, 0xbf737871, v14
	v_fmac_f32_e32 v18, 0x3f167918, v14
	;; [unrolled: 1-line block ×3, first 2 shown]
	v_add_f32_e32 v1, v1, v97
	v_add_nc_u32_e32 v107, 0x600, v46
	v_fmac_f32_e32 v13, 0x3f167918, v16
	v_fmac_f32_e32 v0, 0xbf167918, v16
	v_fmac_f32_e32 v18, 0x3e9e377a, v2
	v_fmac_f32_e32 v35, 0x3e9e377a, v2
	v_add_f32_e32 v2, v53, v70
	ds_write2_b32 v107, v12, v1 offset0:116 offset1:241
	v_fmac_f32_e32 v13, 0x3e9e377a, v3
	v_fmac_f32_e32 v0, 0x3e9e377a, v3
	v_add_f32_e32 v1, v34, v56
	v_sub_f32_e32 v3, v56, v53
	v_sub_f32_e32 v12, v69, v70
	v_add_f32_e32 v14, v56, v69
	v_fma_f32 v2, -0.5, v2, v34
	v_sub_f32_e32 v16, v44, v63
	v_add_f32_e32 v1, v1, v53
	v_add_f32_e32 v3, v3, v12
	v_sub_f32_e32 v12, v43, v65
	v_fmac_f32_e32 v34, -0.5, v14
	v_fmamk_f32 v14, v16, 0x3f737871, v2
	v_fmac_f32_e32 v51, v21, v118
	v_add_f32_e32 v1, v1, v70
	v_sub_f32_e32 v17, v53, v56
	v_sub_f32_e32 v19, v70, v69
	v_fmamk_f32 v21, v12, 0xbf737871, v34
	v_fmac_f32_e32 v34, 0x3f737871, v12
	v_fmac_f32_e32 v14, 0x3f167918, v12
	v_add_nc_u32_e32 v108, 0xa00, v46
	v_add_f32_e32 v17, v17, v19
	v_fmac_f32_e32 v21, 0x3f167918, v16
	v_fmac_f32_e32 v34, 0xbf167918, v16
	v_add_f32_e32 v1, v1, v69
	v_fmac_f32_e32 v14, 0x3e9e377a, v3
	v_add_nc_u32_e32 v110, 0x1200, v99
	v_add_nc_u32_e32 v109, 0xe00, v46
	v_fmac_f32_e32 v21, 0x3e9e377a, v17
	v_fmac_f32_e32 v34, 0x3e9e377a, v17
	ds_write2_b32 v108, v13, v18 offset0:110 offset1:235
	ds_write2_b32 v109, v35, v0 offset0:104 offset1:229
	;; [unrolled: 1-line block ×3, first 2 shown]
	v_add_f32_e32 v1, v42, v57
	v_sub_f32_e32 v13, v40, v42
	v_sub_f32_e32 v14, v59, v57
	v_add_f32_e32 v17, v40, v59
	v_add_f32_e32 v0, v33, v40
	v_fma_f32 v1, -0.5, v1, v33
	v_sub_f32_e32 v18, v31, v51
	v_add_f32_e32 v13, v13, v14
	v_sub_f32_e32 v14, v39, v49
	v_fmac_f32_e32 v33, -0.5, v17
	v_sub_f32_e32 v19, v42, v40
	v_sub_f32_e32 v22, v57, v59
	;; [unrolled: 1-line block ×4, first 2 shown]
	v_fmamk_f32 v24, v14, 0xbf737871, v33
	v_fmac_f32_e32 v33, 0x3f737871, v14
	v_add_f32_e32 v19, v19, v22
	v_add_f32_e32 v22, v37, v55
	;; [unrolled: 1-line block ×3, first 2 shown]
	v_fmac_f32_e32 v24, 0x3f167918, v18
	v_fmac_f32_e32 v33, 0xbf167918, v18
	v_sub_f32_e32 v29, v8, v47
	v_fma_f32 v22, -0.5, v22, v32
	v_add_f32_e32 v25, v25, v26
	v_fmac_f32_e32 v24, 0x3e9e377a, v19
	v_fmac_f32_e32 v33, 0x3e9e377a, v19
	v_add_f32_e32 v19, v32, v30
	v_sub_f32_e32 v26, v28, v41
	v_fmac_f32_e32 v32, -0.5, v27
	v_add_f32_e32 v0, v0, v42
	v_fmamk_f32 v17, v18, 0x3f737871, v1
	v_add_f32_e32 v19, v19, v37
	v_fmamk_f32 v27, v29, 0x3f737871, v22
	v_sub_f32_e32 v35, v37, v30
	v_sub_f32_e32 v36, v55, v101
	v_fmamk_f32 v114, v26, 0xbf737871, v32
	v_fmac_f32_e32 v32, 0x3f737871, v26
	v_add_f32_e32 v0, v0, v57
	v_fmac_f32_e32 v17, 0x3f167918, v14
	v_add_f32_e32 v19, v19, v55
	;; [unrolled: 2-line block ×3, first 2 shown]
	v_fmac_f32_e32 v114, 0x3f167918, v29
	v_fmac_f32_e32 v32, 0xbf167918, v29
	v_add_nc_u32_e32 v111, 0x1600, v99
	v_add_f32_e32 v0, v0, v59
	v_fmac_f32_e32 v17, 0x3e9e377a, v13
	v_add_nc_u32_e32 v112, 0x1c00, v96
	v_add_nc_u32_e32 v113, 0x2000, v96
	v_add_f32_e32 v19, v19, v101
	v_fmac_f32_e32 v27, 0x3e9e377a, v25
	v_add_nc_u32_e32 v115, 0x2600, v68
	v_fmac_f32_e32 v114, 0x3e9e377a, v35
	v_fmac_f32_e32 v32, 0x3e9e377a, v35
	v_add_nc_u32_e32 v116, 0x2a00, v68
	ds_write2_b32 v111, v21, v34 offset0:92 offset1:217
	ds_write2_b32 v112, v0, v17 offset0:83 offset1:208
	;; [unrolled: 1-line block ×5, first 2 shown]
	v_sub_f32_e32 v34, v98, v15
	v_add_f32_e32 v0, v45, v62
	v_add_f32_e32 v15, v66, v61
	v_sub_f32_e32 v98, v23, v20
	v_fmac_f32_e32 v2, 0xbf737871, v16
	v_add_f32_e32 v117, v102, v66
	v_fma_f32 v114, -0.5, v0, v102
	v_fmac_f32_e32 v102, -0.5, v15
	v_fmac_f32_e32 v1, 0xbf737871, v18
	v_fmac_f32_e32 v22, 0xbf737871, v29
	;; [unrolled: 1-line block ×3, first 2 shown]
	v_sub_f32_e32 v0, v45, v66
	v_sub_f32_e32 v12, v62, v61
	v_fmamk_f32 v118, v98, 0x3f737871, v102
	v_fmac_f32_e32 v102, 0xbf737871, v98
	v_fmac_f32_e32 v1, 0xbf167918, v14
	;; [unrolled: 1-line block ×3, first 2 shown]
	v_add_f32_e32 v0, v0, v12
	v_fmac_f32_e32 v118, 0xbf167918, v34
	v_fmac_f32_e32 v102, 0x3f167918, v34
	;; [unrolled: 1-line block ×7, first 2 shown]
	ds_write_b32 v99, v2 offset:7000
	ds_write_b32 v96, v1 offset:9500
	ds_write_b32 v68, v22 offset:12000
	s_waitcnt lgkmcnt(0)
	s_barrier
	buffer_gl0_inv
	ds_read_b32 v29, v93
	ds_read_b32 v32, v94
	;; [unrolled: 1-line block ×5, first 2 shown]
	ds_read2_b32 v[0:1], v48 offset0:113 offset1:238
	ds_read2_b32 v[14:15], v52 offset0:101 offset1:226
	ds_read2_b32 v[12:13], v50 offset0:83 offset1:208
	ds_read2_b32 v[2:3], v81 offset0:71 offset1:196
	ds_read2_b32 v[16:17], v82 offset0:95 offset1:220
	ds_read2_b32 v[18:19], v83 offset0:65 offset1:190
	ds_read2_b32 v[22:23], v86 offset0:107 offset1:232
	ds_read2_b32 v[20:21], v87 offset0:77 offset1:202
	ds_read2_b32 v[24:25], v89 offset0:89 offset1:214
	ds_read2_b32 v[26:27], v90 offset0:59 offset1:184
	v_add_f32_e32 v92, v103, v58
	v_sub_f32_e32 v66, v66, v45
	v_sub_f32_e32 v93, v61, v62
	v_fmamk_f32 v94, v34, 0xbf737871, v114
	v_fmac_f32_e32 v114, 0x3f737871, v34
	v_add_f32_e32 v34, v92, v64
	v_add_f32_e32 v92, v64, v72
	;; [unrolled: 1-line block ×4, first 2 shown]
	v_sub_f32_e32 v60, v60, v97
	v_sub_f32_e32 v67, v67, v73
	v_fma_f32 v92, -0.5, v92, v103
	v_add_f32_e32 v34, v34, v72
	v_fmac_f32_e32 v103, -0.5, v93
	v_sub_f32_e32 v73, v58, v64
	v_sub_f32_e32 v93, v71, v72
	;; [unrolled: 1-line block ×4, first 2 shown]
	v_fmamk_f32 v72, v60, 0xbf737871, v92
	v_fmamk_f32 v95, v67, 0x3f737871, v103
	v_fmac_f32_e32 v114, 0x3f167918, v98
	v_add_f32_e32 v73, v73, v93
	v_add_f32_e32 v58, v58, v64
	v_fmac_f32_e32 v72, 0xbf167918, v67
	v_fmac_f32_e32 v95, 0xbf167918, v60
	;; [unrolled: 1-line block ×3, first 2 shown]
	v_add_f32_e32 v34, v34, v71
	v_fmac_f32_e32 v103, 0xbf737871, v67
	v_fmac_f32_e32 v72, 0x3e9e377a, v73
	;; [unrolled: 1-line block ×3, first 2 shown]
	s_waitcnt lgkmcnt(0)
	s_barrier
	buffer_gl0_inv
	ds_write2_b32 v106, v118, v102 offset0:122 offset1:247
	v_fmac_f32_e32 v103, 0x3f167918, v60
	ds_write2_b32 v107, v114, v34 offset0:116 offset1:241
	ds_write2_b32 v108, v72, v95 offset0:110 offset1:235
	v_add_f32_e32 v34, v43, v65
	v_fmac_f32_e32 v92, 0x3f737871, v60
	v_add_f32_e32 v45, v117, v45
	v_fmac_f32_e32 v103, 0x3e9e377a, v58
	v_sub_f32_e32 v56, v56, v69
	v_add_f32_e32 v58, v104, v44
	v_fma_f32 v34, -0.5, v34, v104
	v_fmac_f32_e32 v92, 0x3f167918, v67
	v_sub_f32_e32 v53, v53, v70
	v_sub_f32_e32 v60, v44, v43
	;; [unrolled: 1-line block ×3, first 2 shown]
	v_add_f32_e32 v58, v58, v43
	v_fmamk_f32 v67, v56, 0xbf737871, v34
	v_add_f32_e32 v45, v45, v62
	v_add_f32_e32 v62, v44, v63
	v_fmac_f32_e32 v94, 0xbf167918, v98
	v_fmac_f32_e32 v92, 0x3e9e377a, v73
	v_add_f32_e32 v60, v60, v64
	v_add_f32_e32 v58, v58, v65
	v_fmac_f32_e32 v67, 0xbf167918, v53
	v_fmac_f32_e32 v104, -0.5, v62
	v_add_f32_e32 v45, v45, v61
	v_fmac_f32_e32 v94, 0x3e9e377a, v66
	v_sub_f32_e32 v43, v43, v44
	v_sub_f32_e32 v44, v65, v63
	v_add_f32_e32 v58, v58, v63
	v_fmac_f32_e32 v67, 0x3e9e377a, v60
	ds_write2_b32 v109, v103, v92 offset0:104 offset1:229
	ds_write2_b32 v46, v45, v94 offset1:125
	v_fmamk_f32 v45, v53, 0x3f737871, v104
	v_fmac_f32_e32 v104, 0xbf737871, v53
	v_sub_f32_e32 v40, v40, v59
	v_sub_f32_e32 v59, v31, v39
	;; [unrolled: 1-line block ×3, first 2 shown]
	v_add_f32_e32 v43, v43, v44
	v_add_f32_e32 v44, v39, v49
	ds_write2_b32 v110, v58, v67 offset0:98 offset1:223
	v_fmac_f32_e32 v45, 0xbf167918, v56
	v_add_f32_e32 v58, v105, v31
	v_fmac_f32_e32 v104, 0x3f167918, v56
	v_add_f32_e32 v59, v59, v61
	v_add_f32_e32 v61, v31, v51
	v_fma_f32 v44, -0.5, v44, v105
	v_add_f32_e32 v58, v58, v39
	v_sub_f32_e32 v42, v42, v57
	v_fmac_f32_e32 v45, 0x3e9e377a, v43
	v_fmac_f32_e32 v104, 0x3e9e377a, v43
	v_fmac_f32_e32 v105, -0.5, v61
	v_fmamk_f32 v57, v40, 0xbf737871, v44
	v_add_f32_e32 v58, v58, v49
	v_sub_f32_e32 v31, v39, v31
	v_sub_f32_e32 v39, v49, v51
	ds_write2_b32 v111, v45, v104 offset0:92 offset1:217
	v_fmamk_f32 v45, v42, 0x3f737871, v105
	v_fmac_f32_e32 v105, 0xbf737871, v42
	v_fmac_f32_e32 v57, 0xbf167918, v42
	v_add_f32_e32 v43, v58, v51
	v_add_f32_e32 v31, v31, v39
	v_fmac_f32_e32 v45, 0xbf167918, v40
	v_fmac_f32_e32 v105, 0x3f167918, v40
	v_sub_f32_e32 v49, v8, v28
	v_sub_f32_e32 v51, v47, v41
	v_fmac_f32_e32 v57, 0x3e9e377a, v59
	v_add_f32_e32 v39, v28, v41
	v_fmac_f32_e32 v45, 0x3e9e377a, v31
	v_fmac_f32_e32 v105, 0x3e9e377a, v31
	v_add_f32_e32 v31, v49, v51
	v_add_f32_e32 v49, v8, v47
	ds_write2_b32 v112, v43, v57 offset0:83 offset1:208
	v_sub_f32_e32 v30, v30, v101
	v_add_f32_e32 v43, v100, v8
	v_fma_f32 v39, -0.5, v39, v100
	v_sub_f32_e32 v37, v37, v55
	v_fmac_f32_e32 v100, -0.5, v49
	v_fmac_f32_e32 v34, 0x3f737871, v56
	v_add_f32_e32 v43, v43, v28
	v_fmamk_f32 v55, v30, 0xbf737871, v39
	v_fmac_f32_e32 v44, 0x3f737871, v40
	v_sub_f32_e32 v8, v28, v8
	v_sub_f32_e32 v28, v41, v47
	v_fmamk_f32 v40, v37, 0x3f737871, v100
	v_fmac_f32_e32 v100, 0xbf737871, v37
	v_fmac_f32_e32 v39, 0x3f737871, v30
	v_add_f32_e32 v43, v43, v41
	v_fmac_f32_e32 v55, 0xbf167918, v37
	v_fmac_f32_e32 v34, 0x3f167918, v53
	v_fmac_f32_e32 v44, 0x3f167918, v42
	v_add_f32_e32 v8, v8, v28
	v_fmac_f32_e32 v40, 0xbf167918, v30
	;; [unrolled: 4-line block ×3, first 2 shown]
	v_fmac_f32_e32 v34, 0x3e9e377a, v60
	v_fmac_f32_e32 v44, 0x3e9e377a, v59
	;; [unrolled: 1-line block ×5, first 2 shown]
	ds_write2_b32 v113, v45, v105 offset0:77 offset1:202
	ds_write2_b32 v115, v43, v55 offset0:68 offset1:193
	ds_write_b32 v99, v34 offset:7000
	ds_write_b32 v96, v44 offset:9500
	ds_write2_b32 v116, v40, v100 offset0:62 offset1:187
	ds_write_b32 v68, v39 offset:12000
	s_waitcnt lgkmcnt(0)
	s_barrier
	buffer_gl0_inv
	s_and_saveexec_b32 s0, vcc_lo
	s_cbranch_execz .LBB0_15
; %bb.14:
	v_lshlrev_b32_e32 v8, 2, v78
	v_add_co_u32 v43, vcc_lo, 0x1360, v10
	v_add_co_ci_u32_e32 v44, vcc_lo, 0, v11, vcc_lo
	v_lshlrev_b64 v[30:31], 3, v[8:9]
	v_lshlrev_b32_e32 v8, 2, v77
	v_mul_lo_u32 v53, s5, v6
	v_mul_lo_u32 v73, s4, v7
	v_sub_nc_u32_e32 v45, 0, v91
	v_sub_nc_u32_e32 v37, 0, v88
	v_add_co_u32 v28, vcc_lo, s12, v30
	v_add_co_ci_u32_e32 v34, vcc_lo, s13, v31, vcc_lo
	v_lshlrev_b64 v[67:68], 3, v[8:9]
	v_add_co_u32 v30, vcc_lo, 0x1000, v28
	v_add_co_ci_u32_e32 v31, vcc_lo, 0, v34, vcc_lo
	v_add_co_u32 v10, vcc_lo, 0x1000, v10
	v_add_co_ci_u32_e32 v11, vcc_lo, 0, v11, vcc_lo
	v_add_co_u32 v63, vcc_lo, 0x1360, v28
	v_add_co_ci_u32_e32 v64, vcc_lo, 0, v34, vcc_lo
	v_add_co_u32 v8, vcc_lo, s12, v67
	v_add_co_ci_u32_e32 v28, vcc_lo, s13, v68, vcc_lo
	s_clause 0x3
	global_load_dwordx4 v[39:42], v[10:11], off offset:864
	global_load_dwordx4 v[55:58], v[43:44], off offset:16
	;; [unrolled: 1-line block ×4, first 2 shown]
	v_add_co_u32 v10, vcc_lo, 0x1000, v8
	v_add_co_ci_u32_e32 v11, vcc_lo, 0, v28, vcc_lo
	v_add_co_u32 v30, vcc_lo, 0x1360, v8
	v_lshlrev_b32_e32 v8, 2, v76
	v_add_co_ci_u32_e32 v31, vcc_lo, 0, v28, vcc_lo
	s_clause 0x1
	global_load_dwordx4 v[67:70], v[10:11], off offset:864
	global_load_dwordx4 v[92:95], v[30:31], off offset:16
	v_lshlrev_b64 v[10:11], 3, v[8:9]
	v_sub_nc_u32_e32 v34, 0, v85
	v_mad_u64_u32 v[43:44], null, s4, v6, 0
	v_add_nc_u32_e32 v45, v80, v45
	v_add_nc_u32_e32 v37, v38, v37
	v_add_co_u32 v8, vcc_lo, s12, v10
	v_add_co_ci_u32_e32 v28, vcc_lo, s13, v11, vcc_lo
	v_add_nc_u32_e32 v34, v54, v34
	v_add_co_u32 v10, vcc_lo, 0x1000, v8
	v_add_co_ci_u32_e32 v11, vcc_lo, 0, v28, vcc_lo
	v_add_co_u32 v30, vcc_lo, 0x1360, v8
	v_lshlrev_b32_e32 v8, 2, v75
	v_add_co_ci_u32_e32 v31, vcc_lo, 0, v28, vcc_lo
	s_clause 0x1
	global_load_dwordx4 v[96:99], v[10:11], off offset:864
	global_load_dwordx4 v[100:103], v[30:31], off offset:16
	v_lshlrev_b64 v[8:9], 3, v[8:9]
	v_sub_nc_u32_e32 v28, 0, v84
	v_add3_u32 v44, v44, v73, v53
	v_add_co_u32 v10, vcc_lo, s12, v8
	v_add_co_ci_u32_e32 v11, vcc_lo, s13, v9, vcc_lo
	v_add_nc_u32_e32 v28, v79, v28
	v_add_co_u32 v8, vcc_lo, 0x1000, v10
	v_add_co_ci_u32_e32 v9, vcc_lo, 0, v11, vcc_lo
	v_add_co_u32 v10, vcc_lo, 0x1360, v10
	v_add_co_ci_u32_e32 v11, vcc_lo, 0, v11, vcc_lo
	s_clause 0x1
	global_load_dwordx4 v[75:78], v[8:9], off offset:864
	global_load_dwordx4 v[104:107], v[10:11], off offset:16
	ds_read2_b32 v[51:52], v52 offset0:101 offset1:226
	ds_read2_b32 v[47:48], v48 offset0:113 offset1:238
	;; [unrolled: 1-line block ×10, first 2 shown]
	ds_read_b32 v85, v46
	ds_read_b32 v38, v45
	;; [unrolled: 1-line block ×5, first 2 shown]
	v_lshlrev_b64 v[43:44], 3, v[43:44]
	s_waitcnt vmcnt(9) lgkmcnt(14)
	v_mul_f32_e32 v73, v41, v52
	s_waitcnt lgkmcnt(13)
	v_mul_f32_e32 v79, v39, v47
	s_waitcnt vmcnt(7) lgkmcnt(11)
	v_mul_f32_e32 v28, v61, v7
	v_mul_f32_e32 v46, v59, v51
	s_waitcnt vmcnt(6) lgkmcnt(10)
	v_mul_f32_e32 v54, v65, v9
	v_mul_f32_e32 v51, v60, v51
	;; [unrolled: 1-line block ×6, first 2 shown]
	v_fmac_f32_e32 v28, v25, v62
	v_fmac_f32_e32 v46, v14, v60
	v_fmac_f32_e32 v54, v27, v66
	v_fma_f32 v14, v14, v59, -v51
	v_fma_f32 v27, v27, v65, -v9
	;; [unrolled: 1-line block ×3, first 2 shown]
	s_waitcnt vmcnt(5)
	v_mul_f32_e32 v51, v69, v6
	s_waitcnt lgkmcnt(9)
	v_mul_f32_e32 v59, v67, v11
	s_waitcnt vmcnt(4) lgkmcnt(8)
	v_mul_f32_e32 v60, v92, v31
	v_mul_f32_e32 v61, v94, v8
	;; [unrolled: 1-line block ×6, first 2 shown]
	v_fmac_f32_e32 v53, v2, v64
	v_fma_f32 v2, v2, v63, -v71
	v_add_f32_e32 v89, v14, v27
	v_fmac_f32_e32 v51, v24, v70
	v_fmac_f32_e32 v59, v23, v68
	;; [unrolled: 1-line block ×4, first 2 shown]
	v_fma_f32 v23, v23, v67, -v7
	v_fma_f32 v67, v26, v94, -v8
	;; [unrolled: 1-line block ×4, first 2 shown]
	v_sub_f32_e32 v11, v28, v46
	v_sub_f32_e32 v31, v53, v54
	s_waitcnt vmcnt(3) lgkmcnt(7)
	v_mul_f32_e32 v69, v98, v82
	v_mul_f32_e32 v70, v96, v10
	s_waitcnt vmcnt(2)
	v_mul_f32_e32 v92, v100, v30
	s_waitcnt lgkmcnt(6)
	v_mul_f32_e32 v21, v103, v84
	v_mul_f32_e32 v30, v101, v30
	v_sub_f32_e32 v62, v14, v27
	v_add_f32_e32 v63, v46, v54
	v_add_f32_e32 v71, v28, v53
	s_waitcnt lgkmcnt(3)
	v_add_f32_e32 v86, v46, v38
	v_sub_f32_e32 v87, v25, v14
	v_sub_f32_e32 v88, v2, v27
	;; [unrolled: 1-line block ×4, first 2 shown]
	v_add_f32_e32 v14, v33, v14
	v_mul_f32_e32 v93, v102, v84
	v_mul_f32_e32 v10, v97, v10
	;; [unrolled: 1-line block ×3, first 2 shown]
	v_fma_f32 v6, -0.5, v89, v33
	v_fmac_f32_e32 v69, v17, v99
	v_fmac_f32_e32 v70, v22, v97
	v_fma_f32 v97, v19, v102, -v21
	v_fma_f32 v99, v20, v100, -v30
	s_waitcnt vmcnt(1)
	v_mul_f32_e32 v30, v75, v48
	s_waitcnt vmcnt(0)
	v_mul_f32_e32 v102, v106, v83
	v_sub_f32_e32 v64, v25, v2
	v_sub_f32_e32 v65, v46, v28
	;; [unrolled: 1-line block ×5, first 2 shown]
	v_add_f32_e32 v109, v25, v2
	v_add_f32_e32 v82, v11, v31
	v_fma_f32 v7, -0.5, v63, v38
	v_fma_f32 v9, -0.5, v71, v38
	v_add_f32_e32 v28, v28, v86
	v_add_f32_e32 v38, v87, v88
	;; [unrolled: 1-line block ×3, first 2 shown]
	v_sub_f32_e32 v25, v51, v59
	v_sub_f32_e32 v31, v60, v61
	s_waitcnt lgkmcnt(2)
	v_add_f32_e32 v88, v59, v37
	v_fmac_f32_e32 v92, v20, v101
	v_fmac_f32_e32 v93, v19, v103
	v_mul_f32_e32 v100, v77, v81
	v_mul_f32_e32 v101, v104, v50
	;; [unrolled: 1-line block ×4, first 2 shown]
	v_fmamk_f32 v19, v90, 0x3f737871, v6
	v_fmac_f32_e32 v6, 0xbf737871, v90
	v_fmac_f32_e32 v30, v1, v76
	;; [unrolled: 1-line block ×3, first 2 shown]
	v_add_f32_e32 v63, v65, v66
	v_add_f32_e32 v65, v91, v108
	v_fma_f32 v8, -0.5, v109, v33
	v_add_f32_e32 v66, v59, v61
	v_add_f32_e32 v87, v51, v60
	v_sub_f32_e32 v89, v26, v23
	v_sub_f32_e32 v91, v68, v67
	v_add_f32_e32 v111, v32, v23
	v_fma_f32 v98, v17, v98, -v24
	v_mul_f32_e32 v17, v76, v48
	v_mul_f32_e32 v48, v107, v83
	v_add_f32_e32 v28, v53, v28
	v_add_f32_e32 v53, v25, v31
	;; [unrolled: 1-line block ×3, first 2 shown]
	v_fmac_f32_e32 v100, v16, v78
	v_fmac_f32_e32 v101, v13, v105
	v_fma_f32 v76, v16, v77, -v81
	v_fma_f32 v77, v13, v104, -v50
	v_fmac_f32_e32 v19, 0xbf167918, v46
	v_fmac_f32_e32 v6, 0x3f167918, v46
	v_add_f32_e32 v78, v30, v102
	v_sub_f32_e32 v71, v26, v68
	v_sub_f32_e32 v84, v59, v51
	;; [unrolled: 1-line block ×3, first 2 shown]
	v_add_f32_e32 v94, v23, v67
	v_sub_f32_e32 v95, v51, v60
	v_sub_f32_e32 v108, v23, v26
	;; [unrolled: 1-line block ×3, first 2 shown]
	v_add_f32_e32 v110, v26, v68
	v_fma_f32 v96, v22, v96, -v10
	v_fmamk_f32 v10, v46, 0xbf737871, v8
	v_fmac_f32_e32 v8, 0x3f737871, v46
	v_add_f32_e32 v14, v14, v2
	v_fma_f32 v22, -0.5, v66, v37
	v_fma_f32 v24, -0.5, v87, v37
	v_add_f32_e32 v51, v89, v91
	v_add_f32_e32 v26, v26, v111
	;; [unrolled: 1-line block ×3, first 2 shown]
	s_waitcnt lgkmcnt(1)
	v_add_f32_e32 v91, v70, v34
	v_fma_f32 v75, v1, v75, -v17
	v_fma_f32 v18, v18, v106, -v48
	v_add_f32_e32 v2, v54, v28
	v_add_f32_e32 v25, v60, v25
	v_sub_f32_e32 v54, v100, v30
	v_sub_f32_e32 v60, v101, v102
	;; [unrolled: 1-line block ×3, first 2 shown]
	v_fmac_f32_e32 v19, 0x3e9e377a, v38
	v_fmac_f32_e32 v6, 0x3e9e377a, v38
	s_waitcnt lgkmcnt(0)
	v_fma_f32 v38, -0.5, v78, v45
	v_sub_f32_e32 v33, v23, v67
	v_sub_f32_e32 v59, v59, v61
	v_add_f32_e32 v66, v84, v86
	v_fma_f32 v21, -0.5, v94, v32
	v_add_f32_e32 v83, v108, v109
	v_fma_f32 v23, -0.5, v110, v32
	v_sub_f32_e32 v31, v69, v70
	v_sub_f32_e32 v32, v92, v93
	;; [unrolled: 1-line block ×5, first 2 shown]
	v_add_f32_e32 v89, v69, v92
	v_sub_f32_e32 v94, v98, v96
	v_add_f32_e32 v108, v96, v97
	v_sub_f32_e32 v109, v69, v92
	v_sub_f32_e32 v110, v96, v98
	v_add_f32_e32 v96, v29, v96
	v_fmac_f32_e32 v10, 0xbf167918, v90
	v_fmac_f32_e32 v8, 0x3f167918, v90
	v_add_f32_e32 v46, v26, v68
	v_fma_f32 v28, -0.5, v37, v34
	v_add_f32_e32 v37, v69, v91
	v_sub_f32_e32 v69, v75, v18
	v_add_f32_e32 v90, v30, v45
	v_add_f32_e32 v26, v61, v25
	;; [unrolled: 1-line block ×3, first 2 shown]
	v_fmamk_f32 v54, v81, 0xbf737871, v38
	v_fmac_f32_e32 v38, 0x3f737871, v81
	v_fmamk_f32 v16, v95, 0x3f737871, v21
	v_fmac_f32_e32 v21, 0xbf737871, v95
	v_add_f32_e32 v48, v31, v32
	v_fma_f32 v32, -0.5, v89, v34
	v_add_f32_e32 v50, v98, v96
	v_add_f32_e32 v89, v100, v101
	;; [unrolled: 1-line block ×4, first 2 shown]
	v_fmac_f32_e32 v10, 0x3e9e377a, v65
	v_fmac_f32_e32 v8, 0x3e9e377a, v65
	v_fmamk_f32 v34, v86, 0xbf737871, v28
	v_fmac_f32_e32 v28, 0x3f737871, v86
	v_add_f32_e32 v65, v100, v90
	v_fmac_f32_e32 v54, 0x3f167918, v69
	v_fmac_f32_e32 v38, 0xbf167918, v69
	v_mul_f32_e32 v80, v57, v72
	v_fmamk_f32 v13, v59, 0xbf737871, v23
	v_fmac_f32_e32 v23, 0x3f737871, v59
	v_sub_f32_e32 v91, v76, v75
	v_sub_f32_e32 v104, v75, v76
	v_add_f32_e32 v75, v36, v75
	v_fmac_f32_e32 v16, 0xbf167918, v59
	v_fmac_f32_e32 v21, 0x3f167918, v59
	v_add_f32_e32 v25, v46, v67
	v_add_f32_e32 v59, v92, v37
	v_fma_f32 v46, -0.5, v89, v45
	v_fma_f32 v37, -0.5, v96, v36
	;; [unrolled: 1-line block ×3, first 2 shown]
	v_fmac_f32_e32 v34, 0x3f167918, v84
	v_fmac_f32_e32 v28, 0xbf167918, v84
	v_add_f32_e32 v36, v101, v65
	v_fmac_f32_e32 v54, 0x3e9e377a, v61
	v_fmac_f32_e32 v38, 0x3e9e377a, v61
	v_mul_f32_e32 v61, v55, v49
	v_fmac_f32_e32 v34, 0x3e9e377a, v48
	v_fmac_f32_e32 v28, 0x3e9e377a, v48
	v_add_f32_e32 v48, v102, v36
	v_fmac_f32_e32 v73, v15, v42
	v_fmac_f32_e32 v79, v0, v40
	v_fmac_f32_e32 v80, v3, v58
	v_mul_f32_e32 v36, v42, v52
	v_mul_f32_e32 v40, v40, v47
	v_fmac_f32_e32 v61, v12, v56
	v_mul_f32_e32 v42, v56, v49
	v_mul_f32_e32 v47, v58, v72
	v_fma_f32 v15, v15, v41, -v36
	v_fma_f32 v0, v0, v39, -v40
	v_sub_f32_e32 v39, v73, v79
	v_sub_f32_e32 v41, v61, v80
	v_add_f32_e32 v49, v79, v80
	v_fma_f32 v52, v12, v55, -v42
	v_fma_f32 v3, v3, v57, -v47
	v_add_f32_e32 v36, v76, v75
	v_add_f32_e32 v39, v39, v41
	;; [unrolled: 1-line block ×3, first 2 shown]
	v_fma_f32 v40, -0.5, v49, v85
	v_sub_f32_e32 v12, v15, v52
	v_fmamk_f32 v11, v62, 0x3f737871, v9
	v_fmac_f32_e32 v9, 0xbf737871, v62
	v_sub_f32_e32 v103, v99, v97
	v_sub_f32_e32 v49, v0, v3
	v_add_f32_e32 v36, v36, v77
	v_fma_f32 v56, -0.5, v41, v85
	v_fmamk_f32 v42, v12, 0xbf737871, v40
	v_fmac_f32_e32 v40, 0x3f737871, v12
	v_fmamk_f32 v20, v64, 0xbf737871, v7
	v_fmac_f32_e32 v7, 0x3f737871, v64
	v_fmac_f32_e32 v11, 0x3f167918, v64
	v_fmac_f32_e32 v9, 0xbf167918, v64
	v_add_f32_e32 v64, v94, v103
	v_sub_f32_e32 v94, v77, v18
	v_sub_f32_e32 v105, v18, v77
	v_add_f32_e32 v47, v36, v18
	v_sub_f32_e32 v18, v79, v73
	v_sub_f32_e32 v41, v80, v61
	v_fmamk_f32 v36, v49, 0x3f737871, v56
	v_fmac_f32_e32 v56, 0xbf737871, v49
	v_fmac_f32_e32 v42, 0x3f167918, v49
	;; [unrolled: 1-line block ×3, first 2 shown]
	v_mul_hi_u32 v49, 0xd1b71759, v74
	v_add_f32_e32 v18, v18, v41
	v_fmac_f32_e32 v36, 0x3f167918, v12
	v_fmac_f32_e32 v56, 0xbf167918, v12
	v_sub_f32_e32 v88, v93, v92
	v_add_f32_e32 v55, v79, v85
	v_fmac_f32_e32 v20, 0x3f167918, v62
	v_fmac_f32_e32 v36, 0x3e9e377a, v18
	;; [unrolled: 1-line block ×3, first 2 shown]
	v_lshrrev_b32_e32 v18, 9, v49
	v_fmac_f32_e32 v7, 0xbf167918, v62
	v_add_f32_e32 v62, v87, v88
	v_sub_f32_e32 v87, v30, v100
	v_sub_f32_e32 v88, v102, v101
	v_fmamk_f32 v60, v69, 0x3f737871, v46
	v_fmac_f32_e32 v46, 0xbf737871, v69
	v_sub_f32_e32 v103, v30, v102
	v_fmamk_f32 v30, v84, 0x3f737871, v32
	v_fmac_f32_e32 v32, 0xbf737871, v84
	v_mul_u32_u24_e32 v18, 0x271, v18
	v_add_f32_e32 v1, v14, v27
	v_fmamk_f32 v17, v71, 0xbf737871, v22
	v_fmac_f32_e32 v22, 0x3f737871, v71
	v_fma_f32 v27, -0.5, v108, v29
	v_add_f32_e32 v41, v73, v55
	v_add_f32_e32 v12, v0, v3
	v_fmac_f32_e32 v11, 0x3e9e377a, v63
	v_fmac_f32_e32 v9, 0x3e9e377a, v63
	v_add_f32_e32 v63, v87, v88
	v_fmac_f32_e32 v60, 0x3f167918, v81
	v_fmac_f32_e32 v46, 0xbf167918, v81
	;; [unrolled: 1-line block ×4, first 2 shown]
	v_sub_nc_u32_e32 v18, v74, v18
	v_sub_f32_e32 v70, v70, v93
	v_fmamk_f32 v14, v33, 0x3f737871, v24
	v_fmac_f32_e32 v24, 0xbf737871, v33
	v_fmac_f32_e32 v17, 0x3f167918, v33
	;; [unrolled: 1-line block ×3, first 2 shown]
	v_fmamk_f32 v33, v109, 0x3f737871, v27
	v_fmac_f32_e32 v27, 0xbf737871, v109
	v_fmac_f32_e32 v42, 0x3e9e377a, v39
	;; [unrolled: 1-line block ×3, first 2 shown]
	v_add_f32_e32 v41, v61, v41
	v_fma_f32 v39, -0.5, v12, v35
	v_sub_f32_e32 v12, v73, v61
	v_fmac_f32_e32 v60, 0x3e9e377a, v63
	v_fmac_f32_e32 v46, 0x3e9e377a, v63
	v_sub_f32_e32 v49, v15, v0
	v_sub_f32_e32 v55, v52, v3
	v_sub_f32_e32 v63, v0, v15
	v_add_f32_e32 v0, v35, v0
	v_fmac_f32_e32 v30, 0x3e9e377a, v62
	v_fmac_f32_e32 v32, 0x3e9e377a, v62
	v_mad_u64_u32 v[61:62], null, s2, v18, 0
	v_add_f32_e32 v112, v98, v99
	v_sub_f32_e32 v98, v100, v101
	v_fmac_f32_e32 v33, 0xbf167918, v70
	v_fmac_f32_e32 v27, 0x3f167918, v70
	v_add_f32_e32 v58, v80, v41
	v_fmamk_f32 v41, v12, 0x3f737871, v39
	v_sub_f32_e32 v57, v79, v80
	v_fmac_f32_e32 v39, 0xbf737871, v12
	v_add_f32_e32 v49, v49, v55
	v_add_f32_e32 v55, v15, v52
	;; [unrolled: 1-line block ×3, first 2 shown]
	v_fmac_f32_e32 v17, 0x3e9e377a, v53
	v_fmac_f32_e32 v22, 0x3e9e377a, v53
	v_fmamk_f32 v53, v98, 0x3f737871, v37
	v_fmac_f32_e32 v37, 0xbf737871, v98
	v_fmac_f32_e32 v33, 0x3e9e377a, v64
	;; [unrolled: 1-line block ×5, first 2 shown]
	v_sub_f32_e32 v64, v3, v52
	v_mov_b32_e32 v0, v62
	v_add_f32_e32 v15, v15, v52
	v_add_nc_u32_e32 v52, 0x271, v18
	v_add_f32_e32 v67, v91, v94
	v_fmac_f32_e32 v53, 0xbf167918, v103
	v_fmac_f32_e32 v37, 0x3f167918, v103
	;; [unrolled: 1-line block ×4, first 2 shown]
	v_add_f32_e32 v49, v63, v64
	v_mad_u64_u32 v[62:63], null, s3, v18, v[0:1]
	v_mad_u64_u32 v[63:64], null, s2, v52, 0
	v_fma_f32 v55, -0.5, v55, v35
	v_fmac_f32_e32 v53, 0x3e9e377a, v67
	v_fmac_f32_e32 v37, 0x3e9e377a, v67
	v_add_nc_u32_e32 v67, 0x7d, v74
	v_fma_f32 v31, -0.5, v112, v29
	v_fmamk_f32 v35, v57, 0xbf737871, v55
	v_fmac_f32_e32 v55, 0x3f737871, v57
	v_fmac_f32_e32 v14, 0x3f167918, v71
	;; [unrolled: 1-line block ×3, first 2 shown]
	v_add_f32_e32 v57, v15, v3
	v_lshlrev_b64 v[3:4], 3, v[4:5]
	v_mov_b32_e32 v0, v64
	v_add_nc_u32_e32 v5, 0x4e2, v18
	v_mul_hi_u32 v64, 0xd1b71759, v67
	v_sub_f32_e32 v111, v97, v99
	v_fmamk_f32 v29, v70, 0xbf737871, v31
	v_fmac_f32_e32 v31, 0x3f737871, v70
	v_fmac_f32_e32 v35, 0xbf167918, v12
	v_fmac_f32_e32 v55, 0x3f167918, v12
	v_add_co_u32 v12, vcc_lo, s10, v43
	v_fmac_f32_e32 v14, 0x3e9e377a, v66
	v_fmac_f32_e32 v24, 0x3e9e377a, v66
	v_mad_u64_u32 v[65:66], null, s2, v5, 0
	v_add_co_ci_u32_e32 v15, vcc_lo, s11, v44, vcc_lo
	v_add_f32_e32 v68, v110, v111
	v_fmac_f32_e32 v29, 0xbf167918, v109
	v_fmac_f32_e32 v31, 0x3f167918, v109
	v_lshlrev_b64 v[43:44], 3, v[61:62]
	v_mad_u64_u32 v[61:62], null, s3, v52, v[0:1]
	v_add_co_u32 v52, vcc_lo, v12, v3
	v_lshrrev_b32_e32 v12, 9, v64
	v_fmac_f32_e32 v29, 0x3e9e377a, v68
	v_fmac_f32_e32 v31, 0x3e9e377a, v68
	v_add_co_ci_u32_e32 v68, vcc_lo, v15, v4, vcc_lo
	v_mov_b32_e32 v0, v66
	v_mul_u32_u24_e32 v66, 0x271, v12
	v_add_co_u32 v3, vcc_lo, v52, v43
	v_add_nc_u32_e32 v15, 0x753, v18
	v_add_co_ci_u32_e32 v4, vcc_lo, v68, v44, vcc_lo
	v_mad_u64_u32 v[43:44], null, s3, v5, v[0:1]
	v_sub_nc_u32_e32 v0, v67, v66
	v_mov_b32_e32 v64, v61
	v_mad_u64_u32 v[61:62], null, s2, v15, 0
	v_add_nc_u32_e32 v18, 0x9c4, v18
	v_mad_u32_u24 v12, 0xc35, v12, v0
	v_mov_b32_e32 v66, v43
	global_store_dwordx2 v[3:4], v[57:58], off
	v_lshlrev_b64 v[3:4], 3, v[63:64]
	v_mad_u64_u32 v[43:44], null, s2, v18, 0
	v_mad_u64_u32 v[57:58], null, s2, v12, 0
	v_mov_b32_e32 v0, v62
	v_add_co_u32 v3, vcc_lo, v52, v3
	v_fmac_f32_e32 v55, 0x3e9e377a, v49
	v_add_co_ci_u32_e32 v4, vcc_lo, v68, v4, vcc_lo
	v_mad_u64_u32 v[62:63], null, s3, v15, v[0:1]
	v_mov_b32_e32 v0, v44
	v_mov_b32_e32 v5, v58
	v_lshlrev_b64 v[63:64], 3, v[65:66]
	global_store_dwordx2 v[3:4], v[55:56], off
	v_add_nc_u32_e32 v15, 0x4e2, v12
	v_mad_u64_u32 v[65:66], null, s3, v18, v[0:1]
	v_mad_u64_u32 v[66:67], null, s3, v12, v[5:6]
	v_add_nc_u32_e32 v5, 0x271, v12
	v_add_co_u32 v63, vcc_lo, v52, v63
	v_add_co_ci_u32_e32 v64, vcc_lo, v68, v64, vcc_lo
	v_mad_u64_u32 v[55:56], null, s2, v5, 0
	v_mov_b32_e32 v44, v65
	v_mov_b32_e32 v58, v66
	global_store_dwordx2 v[63:64], v[39:40], off
	v_add_nc_u32_e32 v18, 0xfa, v74
	v_lshlrev_b64 v[3:4], 3, v[61:62]
	v_lshlrev_b64 v[39:40], 3, v[43:44]
	v_mov_b32_e32 v0, v56
	v_lshlrev_b64 v[43:44], 3, v[57:58]
	v_fmac_f32_e32 v35, 0x3e9e377a, v49
	v_add_nc_u32_e32 v49, 0x753, v12
	v_add_co_u32 v3, vcc_lo, v52, v3
	v_mad_u64_u32 v[56:57], null, s3, v5, v[0:1]
	v_mad_u64_u32 v[57:58], null, s2, v15, 0
	v_add_co_ci_u32_e32 v4, vcc_lo, v68, v4, vcc_lo
	v_add_co_u32 v39, vcc_lo, v52, v39
	v_add_nc_u32_e32 v12, 0x9c4, v12
	v_add_co_ci_u32_e32 v40, vcc_lo, v68, v40, vcc_lo
	v_mov_b32_e32 v0, v58
	v_add_co_u32 v43, vcc_lo, v52, v43
	v_add_co_ci_u32_e32 v44, vcc_lo, v68, v44, vcc_lo
	v_mad_u64_u32 v[61:62], null, s3, v15, v[0:1]
	v_mul_hi_u32 v0, 0xd1b71759, v18
	v_mad_u64_u32 v[62:63], null, s2, v49, 0
	v_mad_u64_u32 v[64:65], null, s2, v12, 0
	global_store_dwordx2 v[3:4], v[41:42], off
	global_store_dwordx2 v[39:40], v[35:36], off
	global_store_dwordx2 v[43:44], v[47:48], off
	v_mov_b32_e32 v58, v61
	v_lshlrev_b64 v[3:4], 3, v[55:56]
	v_lshrrev_b32_e32 v15, 9, v0
	v_mov_b32_e32 v0, v63
	v_fmac_f32_e32 v16, 0x3e9e377a, v51
	v_mov_b32_e32 v5, v65
	v_fmac_f32_e32 v21, 0x3e9e377a, v51
	v_mul_u32_u24_e32 v41, 0x271, v15
	v_mad_u64_u32 v[35:36], null, s3, v49, v[0:1]
	v_mad_u64_u32 v[39:40], null, s3, v12, v[5:6]
	v_sub_nc_u32_e32 v0, v18, v41
	v_lshlrev_b64 v[40:41], 3, v[57:58]
	v_add_co_u32 v3, vcc_lo, v52, v3
	v_mov_b32_e32 v63, v35
	v_mad_u32_u24 v5, 0xc35, v15, v0
	v_add_co_ci_u32_e32 v4, vcc_lo, v68, v4, vcc_lo
	v_add_f32_e32 v51, v93, v59
	v_fmamk_f32 v59, v103, 0xbf737871, v45
	v_mad_u64_u32 v[35:36], null, s2, v5, 0
	v_add_nc_u32_e32 v12, 0x271, v5
	v_fmac_f32_e32 v45, 0x3f737871, v103
	v_mov_b32_e32 v65, v39
	v_add_co_u32 v39, vcc_lo, v52, v40
	v_mad_u64_u32 v[47:48], null, s2, v12, 0
	v_mov_b32_e32 v0, v36
	v_add_co_ci_u32_e32 v40, vcc_lo, v68, v41, vcc_lo
	v_lshlrev_b64 v[41:42], 3, v[62:63]
	v_add_f32_e32 v71, v104, v105
	v_mad_u64_u32 v[55:56], null, s3, v5, v[0:1]
	v_fmac_f32_e32 v45, 0x3f167918, v98
	v_lshlrev_b64 v[43:44], 3, v[64:65]
	v_mov_b32_e32 v0, v48
	v_fmac_f32_e32 v59, 0xbf167918, v98
	v_add_co_u32 v41, vcc_lo, v52, v41
	v_fmac_f32_e32 v45, 0x3e9e377a, v71
	v_add_co_ci_u32_e32 v42, vcc_lo, v68, v42, vcc_lo
	v_mad_u64_u32 v[48:49], null, s3, v12, v[0:1]
	v_mov_b32_e32 v36, v55
	v_add_nc_u32_e32 v12, 0x4e2, v5
	v_add_co_u32 v43, vcc_lo, v52, v43
	v_add_nc_u32_e32 v18, 0x177, v74
	v_fmac_f32_e32 v59, 0x3e9e377a, v71
	v_add_co_ci_u32_e32 v44, vcc_lo, v68, v44, vcc_lo
	global_store_dwordx2 v[3:4], v[45:46], off
	global_store_dwordx2 v[39:40], v[37:38], off
	;; [unrolled: 1-line block ×4, first 2 shown]
	v_lshlrev_b64 v[3:4], 3, v[35:36]
	v_mad_u64_u32 v[35:36], null, s2, v12, 0
	v_add_nc_u32_e32 v15, 0x753, v5
	v_mul_hi_u32 v41, 0xd1b71759, v18
	v_add_nc_u32_e32 v5, 0x9c4, v5
	v_lshlrev_b64 v[39:40], 3, v[47:48]
	v_add_f32_e32 v50, v50, v99
	v_mad_u64_u32 v[37:38], null, s2, v15, 0
	v_mov_b32_e32 v0, v36
	v_add_co_u32 v3, vcc_lo, v52, v3
	v_lshrrev_b32_e32 v46, 9, v41
	v_add_co_ci_u32_e32 v4, vcc_lo, v68, v4, vcc_lo
	v_mad_u64_u32 v[41:42], null, s3, v12, v[0:1]
	v_mov_b32_e32 v0, v38
	v_mad_u64_u32 v[42:43], null, s2, v5, 0
	v_mul_u32_u24_e32 v12, 0x271, v46
	v_add_co_u32 v38, vcc_lo, v52, v39
	v_mad_u64_u32 v[44:45], null, s3, v15, v[0:1]
	v_sub_nc_u32_e32 v12, v18, v12
	v_add_f32_e32 v50, v50, v97
	v_mov_b32_e32 v0, v43
	v_add_co_ci_u32_e32 v39, vcc_lo, v68, v40, vcc_lo
	v_mov_b32_e32 v36, v41
	v_mad_u32_u24 v12, 0xc35, v46, v12
	global_store_dwordx2 v[3:4], v[50:51], off
	global_store_dwordx2 v[38:39], v[31:32], off
	v_mov_b32_e32 v38, v44
	v_mad_u64_u32 v[31:32], null, s3, v5, v[0:1]
	v_lshlrev_b64 v[3:4], 3, v[35:36]
	v_mad_u64_u32 v[35:36], null, s2, v12, 0
	v_lshlrev_b64 v[37:38], 3, v[37:38]
	v_add_nc_u32_e32 v5, 0x271, v12
	v_add_nc_u32_e32 v15, 0x4e2, v12
	v_add_co_u32 v3, vcc_lo, v52, v3
	v_mov_b32_e32 v43, v31
	v_add_co_ci_u32_e32 v4, vcc_lo, v68, v4, vcc_lo
	v_mov_b32_e32 v0, v36
	v_add_co_u32 v36, vcc_lo, v52, v37
	v_mad_u64_u32 v[31:32], null, s2, v5, 0
	v_add_co_ci_u32_e32 v37, vcc_lo, v68, v38, vcc_lo
	v_lshlrev_b64 v[38:39], 3, v[42:43]
	global_store_dwordx2 v[3:4], v[27:28], off
	global_store_dwordx2 v[36:37], v[33:34], off
	v_mad_u64_u32 v[40:41], null, s3, v12, v[0:1]
	v_mov_b32_e32 v0, v32
	v_add_co_u32 v3, vcc_lo, v52, v38
	v_add_co_ci_u32_e32 v4, vcc_lo, v68, v39, vcc_lo
	v_mad_u64_u32 v[27:28], null, s3, v5, v[0:1]
	v_add_nc_u32_e32 v18, 0x753, v12
	global_store_dwordx2 v[3:4], v[29:30], off
	v_mad_u64_u32 v[28:29], null, s2, v15, 0
	v_mov_b32_e32 v36, v40
	v_mad_u64_u32 v[33:34], null, s2, v18, 0
	v_mov_b32_e32 v32, v27
	v_add_nc_u32_e32 v27, 0x1f4, v74
	v_add_nc_u32_e32 v12, 0x9c4, v12
	v_mov_b32_e32 v0, v29
	v_lshlrev_b64 v[3:4], 3, v[35:36]
	v_lshlrev_b64 v[29:30], 3, v[31:32]
	v_mov_b32_e32 v5, v34
	v_fmac_f32_e32 v23, 0x3f167918, v95
	v_mad_u64_u32 v[31:32], null, s3, v15, v[0:1]
	v_mul_hi_u32 v0, 0xd1b71759, v27
	v_mad_u64_u32 v[34:35], null, s3, v18, v[5:6]
	v_mad_u64_u32 v[35:36], null, s2, v12, 0
	v_add_co_u32 v3, vcc_lo, v52, v3
	v_add_co_ci_u32_e32 v4, vcc_lo, v68, v4, vcc_lo
	v_lshrrev_b32_e32 v5, 9, v0
	v_add_co_u32 v37, vcc_lo, v52, v29
	v_mov_b32_e32 v29, v31
	v_mov_b32_e32 v0, v36
	v_mul_u32_u24_e32 v15, 0x271, v5
	v_fmac_f32_e32 v23, 0x3e9e377a, v83
	v_add_co_ci_u32_e32 v38, vcc_lo, v68, v30, vcc_lo
	global_store_dwordx2 v[3:4], v[25:26], off
	v_lshlrev_b64 v[3:4], 3, v[28:29]
	v_mad_u64_u32 v[25:26], null, s3, v12, v[0:1]
	v_sub_nc_u32_e32 v0, v27, v15
	global_store_dwordx2 v[37:38], v[23:24], off
	v_lshlrev_b64 v[23:24], 3, v[33:34]
	v_add_co_u32 v3, vcc_lo, v52, v3
	v_mad_u32_u24 v12, 0xc35, v5, v0
	v_add_co_ci_u32_e32 v4, vcc_lo, v68, v4, vcc_lo
	v_add_co_u32 v23, vcc_lo, v52, v23
	v_add_co_ci_u32_e32 v24, vcc_lo, v68, v24, vcc_lo
	v_add_nc_u32_e32 v27, 0x271, v12
	v_mov_b32_e32 v36, v25
	v_mad_u64_u32 v[25:26], null, s2, v12, 0
	global_store_dwordx2 v[3:4], v[21:22], off
	global_store_dwordx2 v[23:24], v[16:17], off
	v_add_nc_u32_e32 v28, 0x4e2, v12
	v_mad_u64_u32 v[15:16], null, s2, v27, 0
	v_add_nc_u32_e32 v30, 0x753, v12
	v_mov_b32_e32 v0, v26
	v_mad_u64_u32 v[17:18], null, s2, v28, 0
	v_lshlrev_b64 v[3:4], 3, v[35:36]
	v_fmac_f32_e32 v13, 0xbf167918, v95
	v_mov_b32_e32 v5, v16
	v_mad_u64_u32 v[21:22], null, s3, v12, v[0:1]
	v_fmac_f32_e32 v7, 0x3e9e377a, v82
	v_mov_b32_e32 v0, v18
	v_mad_u64_u32 v[22:23], null, s3, v27, v[5:6]
	v_mad_u64_u32 v[23:24], null, s2, v30, 0
	v_add_nc_u32_e32 v5, 0x9c4, v12
	v_mad_u64_u32 v[27:28], null, s3, v28, v[0:1]
	v_add_co_u32 v3, vcc_lo, v52, v3
	v_mad_u64_u32 v[28:29], null, s2, v5, 0
	v_fmac_f32_e32 v13, 0x3e9e377a, v83
	v_add_co_ci_u32_e32 v4, vcc_lo, v68, v4, vcc_lo
	v_mov_b32_e32 v0, v24
	v_mov_b32_e32 v26, v21
	;; [unrolled: 1-line block ×3, first 2 shown]
	global_store_dwordx2 v[3:4], v[13:14], off
	v_mov_b32_e32 v18, v27
	v_mad_u64_u32 v[12:13], null, s3, v30, v[0:1]
	v_mov_b32_e32 v0, v29
	v_lshlrev_b64 v[3:4], 3, v[25:26]
	v_lshlrev_b64 v[13:14], 3, v[15:16]
	v_fmac_f32_e32 v20, 0x3e9e377a, v82
	v_mad_u64_u32 v[15:16], null, s3, v5, v[0:1]
	v_add_co_u32 v3, vcc_lo, v52, v3
	v_lshlrev_b64 v[16:17], 3, v[17:18]
	v_mov_b32_e32 v24, v12
	v_add_co_ci_u32_e32 v4, vcc_lo, v68, v4, vcc_lo
	v_add_co_u32 v12, vcc_lo, v52, v13
	v_mov_b32_e32 v29, v15
	v_add_co_ci_u32_e32 v13, vcc_lo, v68, v14, vcc_lo
	v_lshlrev_b64 v[21:22], 3, v[23:24]
	v_add_co_u32 v14, vcc_lo, v52, v16
	v_add_co_ci_u32_e32 v15, vcc_lo, v68, v17, vcc_lo
	v_lshlrev_b64 v[16:17], 3, v[28:29]
	v_add_co_u32 v21, vcc_lo, v52, v21
	v_add_co_ci_u32_e32 v22, vcc_lo, v68, v22, vcc_lo
	v_add_co_u32 v16, vcc_lo, v52, v16
	v_add_co_ci_u32_e32 v17, vcc_lo, v68, v17, vcc_lo
	global_store_dwordx2 v[3:4], v[1:2], off
	global_store_dwordx2 v[12:13], v[8:9], off
	;; [unrolled: 1-line block ×5, first 2 shown]
.LBB0_15:
	s_endpgm
	.section	.rodata,"a",@progbits
	.p2align	6, 0x0
	.amdhsa_kernel fft_rtc_fwd_len3125_factors_5_5_5_5_5_wgs_125_tpt_125_halfLds_sp_op_CI_CI_sbrr_dirReg
		.amdhsa_group_segment_fixed_size 0
		.amdhsa_private_segment_fixed_size 0
		.amdhsa_kernarg_size 104
		.amdhsa_user_sgpr_count 6
		.amdhsa_user_sgpr_private_segment_buffer 1
		.amdhsa_user_sgpr_dispatch_ptr 0
		.amdhsa_user_sgpr_queue_ptr 0
		.amdhsa_user_sgpr_kernarg_segment_ptr 1
		.amdhsa_user_sgpr_dispatch_id 0
		.amdhsa_user_sgpr_flat_scratch_init 0
		.amdhsa_user_sgpr_private_segment_size 0
		.amdhsa_wavefront_size32 1
		.amdhsa_uses_dynamic_stack 0
		.amdhsa_system_sgpr_private_segment_wavefront_offset 0
		.amdhsa_system_sgpr_workgroup_id_x 1
		.amdhsa_system_sgpr_workgroup_id_y 0
		.amdhsa_system_sgpr_workgroup_id_z 0
		.amdhsa_system_sgpr_workgroup_info 0
		.amdhsa_system_vgpr_workitem_id 0
		.amdhsa_next_free_vgpr 131
		.amdhsa_next_free_sgpr 31
		.amdhsa_reserve_vcc 1
		.amdhsa_reserve_flat_scratch 0
		.amdhsa_float_round_mode_32 0
		.amdhsa_float_round_mode_16_64 0
		.amdhsa_float_denorm_mode_32 3
		.amdhsa_float_denorm_mode_16_64 3
		.amdhsa_dx10_clamp 1
		.amdhsa_ieee_mode 1
		.amdhsa_fp16_overflow 0
		.amdhsa_workgroup_processor_mode 1
		.amdhsa_memory_ordered 1
		.amdhsa_forward_progress 0
		.amdhsa_shared_vgpr_count 0
		.amdhsa_exception_fp_ieee_invalid_op 0
		.amdhsa_exception_fp_denorm_src 0
		.amdhsa_exception_fp_ieee_div_zero 0
		.amdhsa_exception_fp_ieee_overflow 0
		.amdhsa_exception_fp_ieee_underflow 0
		.amdhsa_exception_fp_ieee_inexact 0
		.amdhsa_exception_int_div_zero 0
	.end_amdhsa_kernel
	.text
.Lfunc_end0:
	.size	fft_rtc_fwd_len3125_factors_5_5_5_5_5_wgs_125_tpt_125_halfLds_sp_op_CI_CI_sbrr_dirReg, .Lfunc_end0-fft_rtc_fwd_len3125_factors_5_5_5_5_5_wgs_125_tpt_125_halfLds_sp_op_CI_CI_sbrr_dirReg
                                        ; -- End function
	.section	.AMDGPU.csdata,"",@progbits
; Kernel info:
; codeLenInByte = 18896
; NumSgprs: 33
; NumVgprs: 131
; ScratchSize: 0
; MemoryBound: 0
; FloatMode: 240
; IeeeMode: 1
; LDSByteSize: 0 bytes/workgroup (compile time only)
; SGPRBlocks: 4
; VGPRBlocks: 16
; NumSGPRsForWavesPerEU: 33
; NumVGPRsForWavesPerEU: 131
; Occupancy: 7
; WaveLimiterHint : 1
; COMPUTE_PGM_RSRC2:SCRATCH_EN: 0
; COMPUTE_PGM_RSRC2:USER_SGPR: 6
; COMPUTE_PGM_RSRC2:TRAP_HANDLER: 0
; COMPUTE_PGM_RSRC2:TGID_X_EN: 1
; COMPUTE_PGM_RSRC2:TGID_Y_EN: 0
; COMPUTE_PGM_RSRC2:TGID_Z_EN: 0
; COMPUTE_PGM_RSRC2:TIDIG_COMP_CNT: 0
	.text
	.p2alignl 6, 3214868480
	.fill 48, 4, 3214868480
	.type	__hip_cuid_a23e760959496c66,@object ; @__hip_cuid_a23e760959496c66
	.section	.bss,"aw",@nobits
	.globl	__hip_cuid_a23e760959496c66
__hip_cuid_a23e760959496c66:
	.byte	0                               ; 0x0
	.size	__hip_cuid_a23e760959496c66, 1

	.ident	"AMD clang version 19.0.0git (https://github.com/RadeonOpenCompute/llvm-project roc-6.4.0 25133 c7fe45cf4b819c5991fe208aaa96edf142730f1d)"
	.section	".note.GNU-stack","",@progbits
	.addrsig
	.addrsig_sym __hip_cuid_a23e760959496c66
	.amdgpu_metadata
---
amdhsa.kernels:
  - .args:
      - .actual_access:  read_only
        .address_space:  global
        .offset:         0
        .size:           8
        .value_kind:     global_buffer
      - .offset:         8
        .size:           8
        .value_kind:     by_value
      - .actual_access:  read_only
        .address_space:  global
        .offset:         16
        .size:           8
        .value_kind:     global_buffer
      - .actual_access:  read_only
        .address_space:  global
        .offset:         24
        .size:           8
        .value_kind:     global_buffer
      - .actual_access:  read_only
        .address_space:  global
        .offset:         32
        .size:           8
        .value_kind:     global_buffer
      - .offset:         40
        .size:           8
        .value_kind:     by_value
      - .actual_access:  read_only
        .address_space:  global
        .offset:         48
        .size:           8
        .value_kind:     global_buffer
      - .actual_access:  read_only
        .address_space:  global
        .offset:         56
        .size:           8
        .value_kind:     global_buffer
      - .offset:         64
        .size:           4
        .value_kind:     by_value
      - .actual_access:  read_only
        .address_space:  global
        .offset:         72
        .size:           8
        .value_kind:     global_buffer
      - .actual_access:  read_only
        .address_space:  global
        .offset:         80
        .size:           8
        .value_kind:     global_buffer
      - .actual_access:  read_only
        .address_space:  global
        .offset:         88
        .size:           8
        .value_kind:     global_buffer
      - .actual_access:  write_only
        .address_space:  global
        .offset:         96
        .size:           8
        .value_kind:     global_buffer
    .group_segment_fixed_size: 0
    .kernarg_segment_align: 8
    .kernarg_segment_size: 104
    .language:       OpenCL C
    .language_version:
      - 2
      - 0
    .max_flat_workgroup_size: 125
    .name:           fft_rtc_fwd_len3125_factors_5_5_5_5_5_wgs_125_tpt_125_halfLds_sp_op_CI_CI_sbrr_dirReg
    .private_segment_fixed_size: 0
    .sgpr_count:     33
    .sgpr_spill_count: 0
    .symbol:         fft_rtc_fwd_len3125_factors_5_5_5_5_5_wgs_125_tpt_125_halfLds_sp_op_CI_CI_sbrr_dirReg.kd
    .uniform_work_group_size: 1
    .uses_dynamic_stack: false
    .vgpr_count:     131
    .vgpr_spill_count: 0
    .wavefront_size: 32
    .workgroup_processor_mode: 1
amdhsa.target:   amdgcn-amd-amdhsa--gfx1030
amdhsa.version:
  - 1
  - 2
...

	.end_amdgpu_metadata
